;; amdgpu-corpus repo=ROCm/rocFFT kind=compiled arch=gfx1201 opt=O3
	.text
	.amdgcn_target "amdgcn-amd-amdhsa--gfx1201"
	.amdhsa_code_object_version 6
	.protected	bluestein_single_back_len1848_dim1_half_op_CI_CI ; -- Begin function bluestein_single_back_len1848_dim1_half_op_CI_CI
	.globl	bluestein_single_back_len1848_dim1_half_op_CI_CI
	.p2align	8
	.type	bluestein_single_back_len1848_dim1_half_op_CI_CI,@function
bluestein_single_back_len1848_dim1_half_op_CI_CI: ; @bluestein_single_back_len1848_dim1_half_op_CI_CI
; %bb.0:
	s_load_b128 s[8:11], s[0:1], 0x28
	v_mul_u32_u24_e32 v1, 0x11c, v0
	s_mov_b32 s2, exec_lo
	v_mov_b32_e32 v22, 0
	s_delay_alu instid0(VALU_DEP_2) | instskip(NEXT) | instid1(VALU_DEP_1)
	v_lshrrev_b32_e32 v1, 16, v1
	v_add_nc_u32_e32 v21, ttmp9, v1
	s_wait_kmcnt 0x0
	s_delay_alu instid0(VALU_DEP_1)
	v_cmpx_gt_u64_e64 s[8:9], v[21:22]
	s_cbranch_execz .LBB0_31
; %bb.1:
	s_clause 0x1
	s_load_b128 s[4:7], s[0:1], 0x18
	s_load_b64 s[16:17], s[0:1], 0x0
	v_mul_lo_u16 v1, 0xe7, v1
	s_movk_i32 s2, 0xfc17
	s_mov_b32 s3, -1
	s_delay_alu instid0(VALU_DEP_1) | instskip(NEXT) | instid1(VALU_DEP_1)
	v_sub_nc_u16 v7, v0, v1
	v_and_b32_e32 v45, 0xffff, v7
	s_wait_kmcnt 0x0
	s_load_b128 s[12:15], s[4:5], 0x0
	s_wait_kmcnt 0x0
	v_mad_co_u64_u32 v[0:1], null, s14, v21, 0
	v_mad_co_u64_u32 v[2:3], null, s12, v45, 0
	s_mul_u64 s[4:5], s[12:13], 0x268
	s_mul_u64 s[2:3], s[12:13], s[2:3]
	s_delay_alu instid0(SALU_CYCLE_1) | instskip(NEXT) | instid1(VALU_DEP_1)
	s_lshl_b64 s[2:3], s[2:3], 2
	v_mad_co_u64_u32 v[4:5], null, s15, v21, v[1:2]
	s_delay_alu instid0(VALU_DEP_1) | instskip(NEXT) | instid1(VALU_DEP_3)
	v_dual_mov_b32 v1, v4 :: v_dual_lshlrev_b32 v38, 2, v45
	v_mad_co_u64_u32 v[5:6], null, s13, v45, v[3:4]
	s_clause 0x3
	global_load_b32 v47, v38, s[16:17]
	global_load_b32 v39, v38, s[16:17] offset:5852
	global_load_b32 v46, v38, s[16:17] offset:4928
	;; [unrolled: 1-line block ×3, first 2 shown]
	v_lshlrev_b64_e32 v[0:1], 2, v[0:1]
	s_clause 0x1
	global_load_b32 v49, v38, s[16:17] offset:2464
	global_load_b32 v43, v38, s[16:17] offset:924
	v_add_co_u32 v19, s12, s16, v38
	v_mov_b32_e32 v3, v5
	s_wait_alu 0xf1ff
	v_add_co_ci_u32_e64 v20, null, s17, 0, s12
	v_add_co_u32 v0, vcc_lo, s10, v0
	s_delay_alu instid0(VALU_DEP_3) | instskip(SKIP_2) | instid1(VALU_DEP_2)
	v_lshlrev_b64_e32 v[2:3], 2, v[2:3]
	v_add_co_ci_u32_e32 v1, vcc_lo, s11, v1, vcc_lo
	s_lshl_b64 s[10:11], s[4:5], 2
	v_add_co_u32 v0, vcc_lo, v0, v2
	s_wait_alu 0xfffd
	s_delay_alu instid0(VALU_DEP_2) | instskip(SKIP_1) | instid1(VALU_DEP_2)
	v_add_co_ci_u32_e32 v1, vcc_lo, v1, v3, vcc_lo
	s_wait_alu 0xfffe
	v_add_co_u32 v2, vcc_lo, v0, s10
	s_wait_alu 0xfffd
	s_delay_alu instid0(VALU_DEP_2)
	v_add_co_ci_u32_e32 v3, vcc_lo, s11, v1, vcc_lo
	s_clause 0x1
	global_load_b32 v6, v[0:1], off
	global_load_b32 v8, v[2:3], off
	v_add_co_u32 v0, vcc_lo, v2, s10
	s_wait_alu 0xfffd
	v_add_co_ci_u32_e32 v1, vcc_lo, s11, v3, vcc_lo
	s_delay_alu instid0(VALU_DEP_2) | instskip(SKIP_1) | instid1(VALU_DEP_2)
	v_add_co_u32 v2, vcc_lo, v0, s2
	s_wait_alu 0xfffd
	v_add_co_ci_u32_e32 v3, vcc_lo, s3, v1, vcc_lo
	global_load_b32 v9, v[0:1], off
	v_add_co_u32 v4, vcc_lo, v2, s10
	global_load_b32 v2, v[2:3], off
	s_wait_alu 0xfffd
	v_add_co_ci_u32_e32 v5, vcc_lo, s11, v3, vcc_lo
	v_add_co_u32 v0, vcc_lo, v4, s10
	s_wait_alu 0xfffd
	s_delay_alu instid0(VALU_DEP_2)
	v_add_co_ci_u32_e32 v1, vcc_lo, s11, v5, vcc_lo
	global_load_b32 v3, v[4:5], off
	global_load_b32 v4, v[0:1], off
	s_load_b64 s[8:9], s[0:1], 0x38
	s_load_b128 s[4:7], s[6:7], 0x0
	v_cmp_gt_u16_e32 vcc_lo, 0x9a, v7
	s_wait_loadcnt 0xa
	v_lshrrev_b32_e32 v40, 16, v39
	v_lshrrev_b32_e32 v51, 16, v47
	s_wait_loadcnt 0x9
	v_lshrrev_b32_e32 v48, 16, v46
	s_wait_loadcnt 0x7
	;; [unrolled: 2-line block ×3, first 2 shown]
	v_lshrrev_b32_e32 v44, 16, v43
	v_lshrrev_b32_e32 v42, 16, v41
	s_wait_loadcnt 0x5
	v_lshrrev_b32_e32 v5, 16, v6
	v_mul_f16_e32 v10, v51, v6
	s_wait_loadcnt 0x4
	v_lshrrev_b32_e32 v12, 16, v8
	v_mul_f16_e32 v13, v50, v8
	v_mul_f16_e32 v11, v51, v5
	v_fma_f16 v5, v47, v5, -v10
	s_delay_alu instid0(VALU_DEP_4) | instskip(NEXT) | instid1(VALU_DEP_4)
	v_mul_f16_e32 v10, v50, v12
	v_fma_f16 v12, v49, v12, -v13
	s_delay_alu instid0(VALU_DEP_4) | instskip(SKIP_3) | instid1(VALU_DEP_3)
	v_fmac_f16_e32 v11, v47, v6
	s_wait_loadcnt 0x3
	v_lshrrev_b32_e32 v6, 16, v9
	v_mul_f16_e32 v13, v48, v9
	v_pack_b32_f16 v5, v11, v5
	v_fmac_f16_e32 v10, v49, v8
	s_wait_loadcnt 0x2
	v_lshrrev_b32_e32 v8, 16, v2
	v_mul_f16_e32 v11, v48, v6
	v_fma_f16 v6, v46, v6, -v13
	v_mul_f16_e32 v13, v44, v2
	s_delay_alu instid0(VALU_DEP_4) | instskip(NEXT) | instid1(VALU_DEP_4)
	v_mul_f16_e32 v14, v44, v8
	v_fmac_f16_e32 v11, v46, v9
	s_wait_loadcnt 0x1
	v_lshrrev_b32_e32 v9, 16, v3
	s_wait_loadcnt 0x0
	v_lshrrev_b32_e32 v15, 16, v4
	v_fma_f16 v8, v43, v8, -v13
	v_mul_f16_e32 v13, v42, v3
	v_mul_f16_e32 v17, v40, v4
	;; [unrolled: 1-line block ×4, first 2 shown]
	v_fmac_f16_e32 v14, v43, v2
	v_fma_f16 v2, v41, v9, -v13
	v_pack_b32_f16 v6, v11, v6
	v_fmac_f16_e32 v16, v41, v3
	v_fma_f16 v3, v39, v15, -v17
	v_fmac_f16_e32 v18, v39, v4
	v_pack_b32_f16 v4, v10, v12
	v_pack_b32_f16 v8, v14, v8
	;; [unrolled: 1-line block ×3, first 2 shown]
	s_delay_alu instid0(VALU_DEP_4)
	v_pack_b32_f16 v3, v18, v3
	ds_store_b32 v38, v4 offset:2464
	ds_store_b32 v38, v6 offset:4928
	ds_store_2addr_b32 v38, v5, v8 offset1:231
	ds_store_b32 v38, v2 offset:3388
	ds_store_b32 v38, v3 offset:5852
	s_and_saveexec_b32 s12, vcc_lo
	s_cbranch_execz .LBB0_3
; %bb.2:
	v_add_co_u32 v0, s2, v0, s2
	s_wait_alu 0xf1ff
	v_add_co_ci_u32_e64 v1, s2, s3, v1, s2
	global_load_b32 v6, v[19:20], off offset:1848
	v_add_co_u32 v2, s2, v0, s10
	s_wait_alu 0xf1ff
	v_add_co_ci_u32_e64 v3, s2, s11, v1, s2
	s_delay_alu instid0(VALU_DEP_2) | instskip(SKIP_1) | instid1(VALU_DEP_2)
	v_add_co_u32 v4, s2, v2, s10
	s_wait_alu 0xf1ff
	v_add_co_ci_u32_e64 v5, s2, s11, v3, s2
	global_load_b32 v7, v[19:20], off offset:4312
	global_load_b32 v0, v[0:1], off
	global_load_b32 v1, v[19:20], off offset:6776
	global_load_b32 v2, v[2:3], off
	global_load_b32 v3, v[4:5], off
	s_wait_loadcnt 0x5
	v_lshrrev_b32_e32 v4, 16, v6
	s_wait_loadcnt 0x4
	v_lshrrev_b32_e32 v5, 16, v7
	;; [unrolled: 2-line block ×3, first 2 shown]
	v_mul_f16_e32 v9, v4, v0
	s_wait_loadcnt 0x1
	v_lshrrev_b32_e32 v11, 16, v2
	v_lshrrev_b32_e32 v10, 16, v1
	s_wait_loadcnt 0x0
	v_lshrrev_b32_e32 v12, 16, v3
	v_mul_f16_e32 v4, v4, v8
	v_fma_f16 v8, v6, v8, -v9
	v_mul_f16_e32 v9, v5, v2
	v_mul_f16_e32 v5, v5, v11
	;; [unrolled: 1-line block ×4, first 2 shown]
	v_fmac_f16_e32 v4, v6, v0
	v_fma_f16 v0, v7, v11, -v9
	v_fmac_f16_e32 v5, v7, v2
	v_fmac_f16_e32 v13, v1, v3
	v_fma_f16 v1, v1, v12, -v10
	v_pack_b32_f16 v2, v4, v8
	s_delay_alu instid0(VALU_DEP_4) | instskip(NEXT) | instid1(VALU_DEP_3)
	v_pack_b32_f16 v0, v5, v0
	v_pack_b32_f16 v1, v13, v1
	ds_store_b32 v38, v2 offset:1848
	ds_store_b32 v38, v0 offset:4312
	;; [unrolled: 1-line block ×3, first 2 shown]
.LBB0_3:
	s_wait_alu 0xfffe
	s_or_b32 exec_lo, exec_lo, s12
	v_add_nc_u32_e32 v0, 0x980, v38
	v_add_nc_u32_e32 v1, 0x1300, v38
	global_wb scope:SCOPE_SE
	s_wait_dscnt 0x0
	s_wait_kmcnt 0x0
	s_barrier_signal -1
	s_barrier_wait -1
	global_inv scope:SCOPE_SE
	ds_load_2addr_b32 v[2:3], v38 offset1:231
	ds_load_2addr_b32 v[4:5], v0 offset0:8 offset1:239
	ds_load_2addr_b32 v[0:1], v1 offset0:16 offset1:247
                                        ; implicit-def: $vgpr6
                                        ; implicit-def: $vgpr7
                                        ; implicit-def: $vgpr10
	s_and_saveexec_b32 s2, vcc_lo
	s_cbranch_execz .LBB0_5
; %bb.4:
	ds_load_b32 v10, v38 offset:1848
	ds_load_b32 v7, v38 offset:4312
	;; [unrolled: 1-line block ×3, first 2 shown]
.LBB0_5:
	s_wait_alu 0xfffe
	s_or_b32 exec_lo, exec_lo, s2
	s_wait_dscnt 0x0
	v_pk_add_f16 v8, v4, v0
	v_pk_add_f16 v9, v4, v0 neg_lo:[0,1] neg_hi:[0,1]
	v_pk_add_f16 v4, v2, v4
	s_load_b64 s[2:3], s[0:1], 0x8
	v_pk_add_f16 v13, v7, v6 neg_lo:[0,1] neg_hi:[0,1]
	v_pk_fma_f16 v2, v8, 0.5, v2 op_sel_hi:[1,0,1] neg_lo:[1,0,0] neg_hi:[1,0,0]
	v_pk_add_f16 v14, v5, v1 neg_lo:[0,1] neg_hi:[0,1]
	v_pk_add_f16 v8, v4, v0
	v_pk_add_f16 v0, v5, v1
	v_pk_add_f16 v4, v6, v7
	v_pk_mul_f16 v11, 0x3aee, v9 op_sel_hi:[0,1]
	v_add_co_u32 v24, null, 0xe7, v45
	v_pk_add_f16 v5, v3, v5
	v_pk_fma_f16 v0, v0, 0.5, v3 op_sel_hi:[1,0,1] neg_lo:[1,0,0] neg_hi:[1,0,0]
	v_pk_fma_f16 v3, v4, 0.5, v10 op_sel_hi:[1,0,1] neg_lo:[1,0,0] neg_hi:[1,0,0]
	v_pk_mul_f16 v4, 0x3aee, v13 op_sel_hi:[0,1]
	v_pk_mul_f16 v15, 0x3aee, v14 op_sel_hi:[0,1]
	v_add_co_u32 v12, null, 0x1ce, v45
	v_pk_add_f16 v9, v2, v11 op_sel:[0,1] op_sel_hi:[1,0]
	v_pk_add_f16 v30, v2, v11 op_sel:[0,1] op_sel_hi:[1,0] neg_lo:[0,1] neg_hi:[0,1]
	v_pk_add_f16 v2, v7, v10
	v_pk_add_f16 v11, v3, v4 op_sel:[0,1] op_sel_hi:[1,0]
	v_pk_add_f16 v14, v0, v15 op_sel:[0,1] op_sel_hi:[1,0]
	v_pk_add_f16 v29, v0, v15 op_sel:[0,1] op_sel_hi:[1,0] neg_lo:[0,1] neg_hi:[0,1]
	v_mul_u32_u24_e32 v18, 3, v45
	v_mul_u32_u24_e32 v0, 3, v24
	v_pk_add_f16 v13, v5, v1
	v_pk_add_f16 v10, v6, v2
	v_pk_add_f16 v16, v3, v4 op_sel:[0,1] op_sel_hi:[1,0] neg_lo:[0,1] neg_hi:[0,1]
	v_lshrrev_b32_e32 v28, 16, v11
	v_lshlrev_b32_e32 v55, 2, v18
	v_lshlrev_b32_e32 v56, 2, v0
	v_mul_u32_u24_e32 v54, 3, v12
	v_bfi_b32 v1, 0xffff, v30, v9
	v_bfi_b32 v2, 0xffff, v9, v30
	;; [unrolled: 1-line block ×4, first 2 shown]
	global_wb scope:SCOPE_SE
	s_wait_kmcnt 0x0
	s_barrier_signal -1
	s_barrier_wait -1
	global_inv scope:SCOPE_SE
	ds_store_b32 v55, v8
	ds_store_2addr_b32 v55, v2, v1 offset0:1 offset1:2
	ds_store_b32 v56, v13
	ds_store_2addr_b32 v56, v3, v0 offset0:1 offset1:2
	s_and_saveexec_b32 s0, vcc_lo
	s_cbranch_execz .LBB0_7
; %bb.6:
	v_lshlrev_b32_e32 v0, 2, v54
	v_bfi_b32 v1, 0xffff, v11, v16
	v_perm_b32 v2, v28, v16, 0x5040100
	ds_store_b32 v0, v10
	ds_store_2addr_b32 v0, v1, v2 offset0:1 offset1:2
.LBB0_7:
	s_wait_alu 0xfffe
	s_or_b32 exec_lo, exec_lo, s0
	v_lshrrev_b32_e32 v33, 16, v9
	v_lshrrev_b32_e32 v32, 16, v14
	v_cmp_gt_u16_e64 s0, 0xa8, v45
	global_wb scope:SCOPE_SE
	s_wait_dscnt 0x0
	s_barrier_signal -1
	s_barrier_wait -1
	global_inv scope:SCOPE_SE
                                        ; implicit-def: $vgpr31
                                        ; implicit-def: $vgpr53
                                        ; implicit-def: $vgpr17
                                        ; implicit-def: $vgpr75
	s_and_saveexec_b32 s1, s0
	s_cbranch_execz .LBB0_9
; %bb.8:
	v_add_nc_u32_e32 v0, 0x400, v38
	v_add_nc_u32_e32 v1, 0xa00, v38
	;; [unrolled: 1-line block ×4, first 2 shown]
	ds_load_b32 v31, v38 offset:6720
	ds_load_2addr_b32 v[12:13], v0 offset0:80 offset1:248
	ds_load_2addr_b32 v[14:15], v1 offset0:32 offset1:200
	ds_load_2addr_b32 v[16:17], v2 offset0:64 offset1:232
	ds_load_2addr_b32 v[10:11], v3 offset0:48 offset1:216
	ds_load_2addr_b32 v[8:9], v38 offset1:168
	s_wait_dscnt 0x5
	v_lshrrev_b32_e32 v53, 16, v31
	s_wait_dscnt 0x4
	v_lshrrev_b32_e32 v33, 16, v12
	;; [unrolled: 2-line block ×4, first 2 shown]
	v_lshrrev_b32_e32 v75, 16, v17
	s_wait_dscnt 0x1
	v_bfi_b32 v16, 0xffff, v16, v11
	v_bfi_b32 v29, 0xffff, v15, v14
	s_wait_dscnt 0x0
	v_bfi_b32 v30, 0xffff, v12, v9
.LBB0_9:
	s_wait_alu 0xfffe
	s_or_b32 exec_lo, exec_lo, s1
	v_and_b32_e32 v12, 0xff, v45
	s_delay_alu instid0(VALU_DEP_2)
	v_lshrrev_b32_e32 v70, 16, v30
	v_lshrrev_b32_e32 v76, 16, v29
	;; [unrolled: 1-line block ×4, first 2 shown]
	v_mul_lo_u16 v0, 0xab, v12
	v_lshrrev_b32_e32 v78, 16, v16
	v_lshrrev_b32_e32 v25, 16, v8
	s_delay_alu instid0(VALU_DEP_3) | instskip(NEXT) | instid1(VALU_DEP_1)
	v_lshrrev_b16 v135, 9, v0
	v_mul_lo_u16 v0, v135, 3
	s_delay_alu instid0(VALU_DEP_1) | instskip(NEXT) | instid1(VALU_DEP_1)
	v_sub_nc_u16 v0, v45, v0
	v_and_b32_e32 v52, 0xff, v0
	s_delay_alu instid0(VALU_DEP_1) | instskip(NEXT) | instid1(VALU_DEP_1)
	v_mul_u32_u24_e32 v0, 10, v52
	v_lshlrev_b32_e32 v15, 2, v0
	s_clause 0x2
	global_load_b128 v[4:7], v15, s[2:3]
	global_load_b128 v[0:3], v15, s[2:3] offset:16
	global_load_b64 v[22:23], v15, s[2:3] offset:32
	global_wb scope:SCOPE_SE
	s_wait_loadcnt 0x0
	s_barrier_signal -1
	s_barrier_wait -1
	global_inv scope:SCOPE_SE
	v_lshrrev_b32_e32 v66, 16, v4
	v_lshrrev_b32_e32 v65, 16, v5
	;; [unrolled: 1-line block ×7, first 2 shown]
	v_mul_f16_e32 v72, v70, v66
	v_mul_f16_e32 v69, v9, v66
	;; [unrolled: 1-line block ×4, first 2 shown]
	v_lshrrev_b32_e32 v59, 16, v2
	v_lshrrev_b32_e32 v58, 16, v3
	v_mul_f16_e32 v73, v33, v65
	v_mul_f16_e32 v68, v30, v65
	v_mul_f16_e32 v67, v13, v64
	v_mul_f16_e32 v80, v76, v63
	v_mul_f16_e32 v82, v77, v61
	v_mul_f16_e32 v35, v10, v61
	v_mul_f16_e32 v85, v75, v57
	v_mul_f16_e32 v26, v17, v57
	v_fma_f16 v74, v9, v4, -v72
	v_fmac_f16_e32 v69, v70, v4
	v_fma_f16 v9, v31, v23, -v86
	v_fmac_f16_e32 v15, v53, v23
	v_lshrrev_b32_e32 v62, 16, v0
	v_mul_f16_e32 v79, v71, v64
	v_mul_f16_e32 v37, v14, v63
	;; [unrolled: 1-line block ×6, first 2 shown]
	v_fma_f16 v73, v30, v5, -v73
	v_fmac_f16_e32 v68, v33, v5
	v_fmac_f16_e32 v67, v71, v6
	v_fma_f16 v71, v14, v7, -v80
	v_fma_f16 v14, v10, v1, -v82
	v_fmac_f16_e32 v35, v77, v1
	v_fma_f16 v10, v17, v22, -v85
	v_fmac_f16_e32 v26, v75, v22
	v_sub_f16_e32 v77, v74, v9
	v_sub_f16_e32 v91, v69, v15
	v_mul_f16_e32 v81, v32, v62
	v_mul_f16_e32 v36, v29, v62
	v_fma_f16 v72, v13, v6, -v79
	v_fma_f16 v13, v11, v2, -v83
	v_fmac_f16_e32 v34, v78, v2
	v_fma_f16 v11, v16, v3, -v84
	v_fmac_f16_e32 v27, v28, v3
	v_add_f16_e32 v75, v74, v9
	v_add_f16_e32 v97, v69, v15
	v_sub_f16_e32 v90, v73, v10
	v_sub_f16_e32 v95, v68, v26
	v_mul_f16_e32 v78, 0xb853, v91
	v_mul_f16_e32 v82, 0xb853, v77
	;; [unrolled: 1-line block ×7, first 2 shown]
	v_mul_f16_e64 v129, 0xba0c, v77
	v_fmac_f16_e32 v37, v76, v7
	v_fma_f16 v70, v29, v0, -v81
	v_fmac_f16_e32 v36, v32, v0
	v_add_f16_e32 v76, v73, v10
	v_add_f16_e32 v100, v68, v26
	v_sub_f16_e32 v92, v72, v11
	v_sub_f16_e32 v99, v67, v27
	v_mul_f16_e32 v79, 0xbb47, v95
	v_mul_f16_e32 v85, 0xbb47, v90
	;; [unrolled: 1-line block ×7, first 2 shown]
	v_mul_f16_e64 v130, 0x3beb, v90
	v_fmamk_f16 v16, v75, 0x3abb, v78
	v_fma_f16 v17, v97, 0x3abb, -v82
	v_fmamk_f16 v28, v75, 0x36a6, v101
	v_fma_f16 v29, v97, 0x36a6, -v105
	;; [unrolled: 2-line block ×4, first 2 shown]
	v_add_f16_e32 v86, v72, v11
	v_add_f16_e32 v107, v67, v27
	v_sub_f16_e32 v125, v37, v34
	v_sub_f16_e32 v115, v71, v13
	v_mul_f16_e32 v81, 0xbbeb, v99
	v_mul_f16_e32 v87, 0xbbeb, v92
	;; [unrolled: 1-line block ×8, first 2 shown]
	v_fmamk_f16 v53, v76, 0x36a6, v79
	v_fma_f16 v136, v100, 0x36a6, -v85
	v_fma_f16 v137, 0xb93d, v76, v102
	v_fma_f16 v138, v100, 0xb93d, -v106
	v_fma_f16 v139, 0xbbad, v76, v112
	;; [unrolled: 2-line block ×3, first 2 shown]
	v_fma_f16 v142, v100, 0xb08e, -v130
	v_add_f16_e32 v16, v8, v16
	v_add_f16_e32 v17, v25, v17
	v_add_f16_e32 v28, v8, v28
	v_add_f16_e32 v29, v25, v29
	v_add_f16_e32 v30, v8, v30
	v_add_f16_e32 v31, v25, v31
	v_add_f16_e32 v32, v8, v32
	v_add_f16_e32 v33, v25, v33
	v_add_f16_e32 v109, v71, v13
	v_add_f16_e64 v133, v37, v34
	v_sub_f16_e64 v132, v36, v35
	v_sub_f16_e32 v126, v70, v14
	v_mul_f16_e32 v83, 0xba0c, v125
	v_mul_f16_e32 v88, 0xba0c, v115
	;; [unrolled: 1-line block ×7, first 2 shown]
	v_mul_f16_e64 v128, 0xb482, v115
	v_fma_f16 v143, 0xb08e, v86, v81
	v_fma_f16 v144, v107, 0xb08e, -v87
	v_fma_f16 v145, 0xbbad, v86, v93
	v_fma_f16 v146, v107, 0xbbad, -v103
	;; [unrolled: 2-line block ×4, first 2 shown]
	v_add_f16_e32 v16, v53, v16
	v_add_f16_e64 v17, v136, v17
	v_add_f16_e64 v28, v137, v28
	;; [unrolled: 1-line block ×7, first 2 shown]
	v_add_f16_e32 v113, v70, v14
	v_add_f16_e64 v134, v36, v35
	v_mul_f16_e64 v84, 0xb482, v132
	v_mul_f16_e32 v89, 0xb482, v126
	v_mul_f16_e64 v80, 0x3853, v132
	v_mul_f16_e32 v96, 0x3853, v126
	;; [unrolled: 2-line block ×3, first 2 shown]
	v_mul_f16_e64 v120, 0x3b47, v132
	v_mul_f16_e64 v131, 0x3b47, v126
	v_fma_f16 v151, 0xb93d, v109, v83
	v_fma_f16 v152, v133, 0xb93d, -v88
	v_fma_f16 v153, 0xb08e, v109, v94
	v_fma_f16 v154, v133, 0xb08e, -v104
	;; [unrolled: 2-line block ×4, first 2 shown]
	v_add_f16_e64 v16, v143, v16
	v_add_f16_e64 v17, v144, v17
	;; [unrolled: 1-line block ×8, first 2 shown]
	v_fma_f16 v159, 0xbbad, v113, v84
	v_fma_f16 v160, v134, 0xbbad, -v89
	v_fma_f16 v161, 0x3abb, v113, v80
	v_fma_f16 v162, v134, 0x3abb, -v96
	;; [unrolled: 2-line block ×4, first 2 shown]
	v_add_f16_e64 v16, v151, v16
	v_add_f16_e64 v17, v152, v17
	;; [unrolled: 1-line block ×16, first 2 shown]
	v_and_b32_e32 v53, 0xffff, v135
	s_and_saveexec_b32 s1, s0
	s_cbranch_execz .LBB0_11
; %bb.10:
	v_mul_f16_e32 v91, 0xb482, v91
	v_mul_f16_e64 v136, 0x3abb, v97
	v_mul_f16_e64 v138, 0x36a6, v97
	;; [unrolled: 1-line block ×4, first 2 shown]
	v_mul_f16_e32 v97, 0xbbad, v97
	v_fma_f16 v177, 0xbbad, v75, v91
	v_mul_f16_e32 v95, 0x3853, v95
	v_mul_f16_e64 v144, 0x36a6, v100
	v_mul_f16_e64 v146, 0xb93d, v100
	;; [unrolled: 1-line block ×4, first 2 shown]
	v_fma_f16 v169, 0x3482, v77, v97
	v_mul_f16_e32 v100, 0x3abb, v100
	v_add_f16_e64 v177, v8, v177
	v_fma_f16 v178, 0x3abb, v76, v95
	v_mul_f16_e32 v99, 0xba0c, v99
	v_fmac_f16_e32 v97, 0xb482, v77
	v_mul_f16_e64 v135, 0x3abb, v75
	v_mul_f16_e64 v137, 0x36a6, v75
	;; [unrolled: 1-line block ×8, first 2 shown]
	v_add_f16_e64 v169, v25, v169
	v_fma_f16 v173, 0xb853, v90, v100
	v_mul_f16_e32 v107, 0xb93d, v107
	v_add_f16_e64 v77, v178, v177
	v_fma_f16 v177, 0xb93d, v86, v99
	v_mul_f16_e32 v125, 0x3b47, v125
	v_add_f16_e32 v97, v25, v97
	v_fmac_f16_e32 v100, 0x3853, v90
	v_fma_f16 v75, v75, 0xbbad, -v91
	v_mul_f16_e64 v143, 0x36a6, v76
	v_mul_f16_e64 v145, 0xb93d, v76
	;; [unrolled: 1-line block ×8, first 2 shown]
	v_add_f16_e64 v169, v173, v169
	v_fma_f16 v173, 0x3a0c, v92, v107
	v_mul_f16_e64 v133, 0x36a6, v133
	v_add_f16_e64 v77, v177, v77
	v_fmamk_f16 v90, v109, 0x36a6, v125
	v_mul_f16_e64 v132, 0xbbeb, v132
	v_add_f16_e32 v91, v100, v97
	v_fmac_f16_e32 v107, 0xba0c, v92
	v_add_f16_e32 v75, v8, v75
	v_fma_f16 v76, v76, 0x3abb, -v95
	v_add_f16_e64 v169, v173, v169
	v_fma_f16 v173, 0xbb47, v115, v133
	v_add_f16_e32 v77, v90, v77
	v_fma_f16 v90, 0xb08e, v113, v132
	v_add_f16_e32 v91, v107, v91
	v_fmac_f16_e64 v133, 0x3b47, v115
	v_add_f16_e64 v92, v129, v142
	v_add_f16_e32 v75, v76, v75
	v_fma_f16 v76, v86, 0xb93d, -v99
	v_mul_f16_e64 v151, 0xb08e, v86
	v_mul_f16_e64 v153, 0xbbad, v86
	;; [unrolled: 1-line block ×4, first 2 shown]
	v_add_f16_e32 v77, v90, v77
	v_add_f16_e64 v86, v133, v91
	v_add_f16_e32 v90, v25, v92
	v_add_f16_e64 v91, v130, v150
	v_add_f16_e32 v75, v76, v75
	v_fma_f16 v76, v109, 0x36a6, -v125
	v_sub_f16_e64 v92, v141, v123
	v_mul_f16_e64 v165, 0xbbad, v109
	v_add_f16_e32 v90, v91, v90
	v_add_f16_e64 v91, v127, v158
	v_add_f16_e32 v75, v76, v75
	v_add_f16_e32 v76, v8, v92
	v_sub_f16_e64 v92, v149, v124
	v_mul_f16_e64 v176, 0x36a6, v134
	v_add_f16_e32 v90, v91, v90
	v_add_f16_e64 v91, v128, v166
	v_add_f16_e64 v95, v117, v140
	v_add_f16_e32 v76, v92, v76
	v_sub_f16_e64 v92, v157, v121
	v_add_f16_e32 v74, v8, v74
	v_add_f16_e32 v69, v25, v69
	v_add_f16_e32 v90, v91, v90
	v_add_f16_e32 v91, v25, v95
	v_add_f16_e64 v95, v118, v148
	v_add_f16_e64 v99, v131, v176
	v_add_f16_e32 v76, v92, v76
	v_sub_f16_e64 v92, v165, v122
	v_sub_f16_e64 v100, v139, v111
	v_add_f16_e32 v73, v74, v73
	v_add_f16_e32 v68, v69, v68
	;; [unrolled: 1-line block ×3, first 2 shown]
	v_add_f16_e64 v95, v114, v156
	v_add_f16_e32 v90, v99, v90
	v_add_f16_e32 v76, v92, v76
	;; [unrolled: 1-line block ×3, first 2 shown]
	v_sub_f16_e64 v99, v147, v112
	v_add_f16_e32 v72, v73, v72
	v_add_f16_e32 v67, v68, v67
	v_add_f16_e32 v91, v95, v91
	v_add_f16_e64 v95, v116, v164
	v_add_f16_e64 v100, v105, v138
	v_add_f16_e32 v92, v99, v92
	v_sub_f16_e64 v99, v155, v110
	v_add_f16_e64 v68, v82, v136
	v_add_f16_e32 v71, v72, v71
	v_add_f16_e32 v37, v67, v37
	;; [unrolled: 1-line block ×5, first 2 shown]
	v_sub_f16_e64 v99, v137, v101
	v_sub_f16_e64 v72, v135, v78
	v_add_f16_e32 v25, v25, v68
	v_add_f16_e64 v67, v85, v144
	v_add_f16_e32 v68, v71, v70
	v_add_f16_e32 v36, v37, v36
	;; [unrolled: 1-line block ×4, first 2 shown]
	v_sub_f16_e64 v37, v143, v79
	v_add_f16_e32 v25, v67, v25
	v_add_f16_e32 v14, v68, v14
	v_add_f16_e64 v67, v87, v152
	v_add_f16_e32 v35, v36, v35
	v_mul_f16_e64 v159, 0xb93d, v109
	v_add_f16_e64 v100, v106, v146
	v_sub_f16_e64 v102, v145, v102
	v_add_f16_e32 v8, v37, v8
	v_sub_f16_e64 v36, v151, v81
	v_add_f16_e32 v13, v14, v13
	v_add_f16_e32 v14, v67, v25
	;; [unrolled: 1-line block ×3, first 2 shown]
	v_mul_f16_e64 v161, 0xb08e, v109
	v_mul_f16_e64 v163, 0x3abb, v109
	;; [unrolled: 1-line block ×4, first 2 shown]
	v_add_f16_e32 v95, v100, v95
	v_add_f16_e64 v100, v103, v154
	v_add_f16_e32 v99, v102, v99
	v_sub_f16_e64 v93, v153, v93
	v_add_f16_e64 v34, v88, v160
	v_add_f16_e32 v8, v36, v8
	v_add_f16_e32 v11, v13, v11
	v_sub_f16_e64 v13, v159, v83
	v_add_f16_e32 v25, v25, v27
	v_mul_f16_e64 v170, 0x3abb, v113
	v_mul_f16_e64 v171, 0x3abb, v134
	;; [unrolled: 1-line block ×4, first 2 shown]
	v_sub_f16_e64 v101, v163, v108
	v_add_f16_e32 v95, v100, v95
	v_add_f16_e64 v100, v104, v162
	v_add_f16_e32 v69, v93, v99
	v_sub_f16_e64 v93, v161, v94
	v_add_f16_e32 v14, v34, v14
	v_add_f16_e64 v27, v89, v168
	v_add_f16_e32 v10, v11, v10
	v_add_f16_e32 v8, v13, v8
	;; [unrolled: 1-line block ×3, first 2 shown]
	v_sub_f16_e64 v13, v167, v84
	v_mul_f16_e64 v175, 0x36a6, v113
	v_mul_f16_e64 v134, 0xb08e, v134
	v_add_f16_e64 v106, v119, v174
	v_add_f16_e32 v92, v101, v92
	v_sub_f16_e64 v98, v172, v98
	v_add_f16_e32 v74, v100, v95
	v_add_f16_e64 v73, v96, v171
	v_add_f16_e32 v69, v93, v69
	v_add_f16_e32 v14, v27, v14
	;; [unrolled: 1-line block ×3, first 2 shown]
	v_mul_u32_u24_e32 v10, 33, v53
	v_add_f16_e32 v11, v11, v15
	v_add_f16_e32 v8, v13, v8
	v_sub_f16_e64 v13, v170, v80
	v_add_f16_e64 v169, v173, v169
	v_fma_f16 v173, 0x3beb, v126, v134
	v_fmac_f16_e64 v134, 0xbbeb, v126
	v_fma_f16 v97, v113, 0xb08e, -v132
	v_sub_f16_e64 v105, v175, v120
	v_add_f16_e32 v91, v106, v91
	v_add_f16_e32 v15, v73, v74
	v_add_lshl_u32 v10, v10, v52, 2
	v_pack_b32_f16 v9, v9, v11
	v_pack_b32_f16 v8, v8, v14
	v_add_f16_e32 v11, v13, v69
	v_add_f16_e32 v13, v98, v92
	v_add_f16_e64 v86, v134, v86
	v_add_f16_e32 v14, v105, v76
	v_add_f16_e32 v25, v97, v75
	v_add_f16_e64 v169, v173, v169
	ds_store_2addr_b32 v10, v9, v8 offset1:3
	v_pack_b32_f16 v8, v11, v15
	v_pack_b32_f16 v9, v13, v91
	;; [unrolled: 1-line block ×5, first 2 shown]
	v_perm_b32 v15, v17, v16, 0x5040100
	v_perm_b32 v25, v33, v30, 0x5040100
	;; [unrolled: 1-line block ×4, first 2 shown]
	ds_store_2addr_b32 v10, v8, v9 offset0:6 offset1:9
	ds_store_2addr_b32 v10, v11, v13 offset0:12 offset1:15
	;; [unrolled: 1-line block ×4, first 2 shown]
	ds_store_b32 v10, v27 offset:120
.LBB0_11:
	s_wait_alu 0xfffe
	s_or_b32 exec_lo, exec_lo, s1
	global_wb scope:SCOPE_SE
	s_wait_dscnt 0x0
	s_barrier_signal -1
	s_barrier_wait -1
	global_inv scope:SCOPE_SE
	ds_load_b32 v34, v38
	ds_load_b32 v87, v38 offset:1056
	ds_load_b32 v84, v38 offset:2112
	;; [unrolled: 1-line block ×6, first 2 shown]
	v_cmp_gt_u16_e64 s1, 33, v45
                                        ; implicit-def: $vgpr35
                                        ; implicit-def: $vgpr77
                                        ; implicit-def: $vgpr37
                                        ; implicit-def: $vgpr83
                                        ; implicit-def: $vgpr36
                                        ; implicit-def: $vgpr89
	s_delay_alu instid0(VALU_DEP_1)
	s_and_saveexec_b32 s10, s1
	s_cbranch_execz .LBB0_13
; %bb.12:
	ds_load_b32 v16, v38 offset:924
	ds_load_b32 v30, v38 offset:1980
	;; [unrolled: 1-line block ×7, first 2 shown]
	s_wait_dscnt 0x6
	v_lshrrev_b32_e32 v17, 16, v16
	s_wait_dscnt 0x5
	v_lshrrev_b32_e32 v33, 16, v30
	;; [unrolled: 2-line block ×7, first 2 shown]
.LBB0_13:
	s_wait_alu 0xfffe
	s_or_b32 exec_lo, exec_lo, s10
	v_mul_lo_u16 v8, 0xf9, v12
	s_wait_dscnt 0x5
	v_lshrrev_b32_e32 v91, 16, v87
	s_wait_dscnt 0x4
	v_lshrrev_b32_e32 v92, 16, v84
	;; [unrolled: 2-line block ×4, first 2 shown]
	v_lshrrev_b16 v67, 13, v8
	v_and_b32_e32 v8, 0xffff, v24
	s_wait_dscnt 0x1
	v_lshrrev_b32_e32 v95, 16, v76
	s_wait_dscnt 0x0
	v_lshrrev_b32_e32 v96, 16, v75
	v_lshrrev_b32_e32 v90, 16, v34
	v_mul_lo_u16 v9, v67, 33
	v_mul_u32_u24_e32 v8, 0xf83f, v8
	v_and_b32_e32 v67, 0xffff, v67
	s_delay_alu instid0(VALU_DEP_3) | instskip(NEXT) | instid1(VALU_DEP_3)
	v_sub_nc_u16 v9, v45, v9
	v_lshrrev_b32_e32 v8, 21, v8
	s_delay_alu instid0(VALU_DEP_3) | instskip(NEXT) | instid1(VALU_DEP_3)
	v_mul_u32_u24_e32 v67, 0xe7, v67
	v_and_b32_e32 v68, 0xff, v9
	s_delay_alu instid0(VALU_DEP_3) | instskip(NEXT) | instid1(VALU_DEP_2)
	v_mul_lo_u16 v10, v8, 33
	v_mad_co_u64_u32 v[8:9], null, v68, 24, s[2:3]
	s_delay_alu instid0(VALU_DEP_2) | instskip(SKIP_1) | instid1(VALU_DEP_2)
	v_sub_nc_u16 v69, v24, v10
	v_add_lshl_u32 v74, v67, v68, 2
	v_mul_lo_u16 v10, v69, 24
	s_clause 0x1
	global_load_b128 v[12:15], v[8:9], off offset:120
	global_load_b64 v[26:27], v[8:9], off offset:136
	v_and_b32_e32 v67, 0xffff, v69
	v_and_b32_e32 v8, 0xffff, v10
	s_delay_alu instid0(VALU_DEP_1)
	v_add_co_u32 v24, s10, s2, v8
	s_wait_alu 0xf1ff
	v_add_co_ci_u32_e64 v25, null, s3, 0, s10
	s_clause 0x1
	global_load_b128 v[8:11], v[24:25], off offset:120
	global_load_b64 v[24:25], v[24:25], off offset:136
	global_wb scope:SCOPE_SE
	s_wait_loadcnt 0x0
	s_barrier_signal -1
	s_barrier_wait -1
	global_inv scope:SCOPE_SE
	v_lshrrev_b32_e32 v88, 16, v12
	v_lshrrev_b32_e32 v86, 16, v13
	;; [unrolled: 1-line block ×6, first 2 shown]
	v_mul_f16_e32 v97, v91, v88
	v_mul_f16_e32 v98, v87, v88
	;; [unrolled: 1-line block ×12, first 2 shown]
	v_lshrrev_b32_e32 v72, 16, v8
	v_lshrrev_b32_e32 v70, 16, v9
	;; [unrolled: 1-line block ×6, first 2 shown]
	v_fma_f16 v87, v87, v12, -v97
	v_fmac_f16_e32 v98, v91, v12
	v_fma_f16 v84, v84, v13, -v99
	v_fmac_f16_e32 v100, v92, v13
	;; [unrolled: 2-line block ×6, first 2 shown]
	v_mul_f16_e32 v91, v33, v72
	v_mul_f16_e32 v92, v30, v72
	;; [unrolled: 1-line block ×12, first 2 shown]
	v_add_f16_e32 v109, v87, v75
	v_add_f16_e32 v110, v98, v108
	v_sub_f16_e32 v75, v87, v75
	v_sub_f16_e32 v87, v98, v108
	v_add_f16_e32 v98, v84, v76
	v_add_f16_e32 v108, v100, v106
	v_sub_f16_e32 v76, v84, v76
	v_sub_f16_e32 v84, v100, v106
	v_add_f16_e32 v100, v82, v78
	v_sub_f16_e32 v78, v78, v82
	v_sub_f16_e32 v82, v104, v102
	v_fma_f16 v30, v30, v8, -v91
	v_fmac_f16_e32 v92, v33, v8
	v_fma_f16 v29, v29, v9, -v93
	v_fmac_f16_e32 v94, v32, v9
	;; [unrolled: 2-line block ×4, first 2 shown]
	v_add_f16_e32 v106, v102, v104
	v_fma_f16 v28, v28, v10, -v95
	v_fmac_f16_e32 v96, v31, v10
	v_fma_f16 v31, v36, v11, -v97
	v_fmac_f16_e32 v99, v89, v11
	v_add_f16_e32 v35, v98, v109
	v_add_f16_e32 v36, v108, v110
	v_sub_f16_e32 v37, v98, v109
	v_sub_f16_e32 v83, v109, v100
	;; [unrolled: 1-line block ×3, first 2 shown]
	v_add_f16_e32 v95, v78, v76
	v_add_f16_e32 v97, v82, v84
	v_sub_f16_e32 v98, v78, v76
	v_sub_f16_e32 v101, v82, v84
	v_add_f16_e32 v102, v30, v33
	v_add_f16_e32 v104, v92, v107
	v_sub_f16_e32 v30, v30, v33
	v_sub_f16_e32 v33, v92, v107
	;; [unrolled: 4-line block ×3, first 2 shown]
	v_sub_f16_e32 v78, v75, v78
	v_sub_f16_e32 v82, v87, v82
	;; [unrolled: 1-line block ×6, first 2 shown]
	v_add_f16_e32 v94, v28, v31
	v_add_f16_e32 v103, v96, v99
	v_sub_f16_e32 v28, v31, v28
	v_sub_f16_e32 v31, v99, v96
	v_add_f16_e32 v35, v100, v35
	v_add_f16_e32 v36, v106, v36
	;; [unrolled: 1-line block ×4, first 2 shown]
	v_mul_f16_e32 v83, 0x3a52, v83
	v_mul_f16_e32 v95, 0x2b26, v91
	;; [unrolled: 1-line block ×4, first 2 shown]
	v_add_f16_e32 v101, v92, v102
	v_add_f16_e32 v106, v105, v104
	v_sub_f16_e32 v77, v108, v110
	v_mul_f16_e32 v89, 0x3a52, v89
	v_mul_f16_e32 v96, 0x2b26, v93
	;; [unrolled: 1-line block ×4, first 2 shown]
	v_sub_f16_e32 v107, v92, v102
	v_sub_f16_e32 v108, v105, v104
	;; [unrolled: 1-line block ×6, first 2 shown]
	v_add_f16_e32 v109, v28, v29
	v_add_f16_e32 v110, v31, v32
	v_sub_f16_e32 v111, v28, v29
	v_sub_f16_e32 v112, v31, v32
	;; [unrolled: 1-line block ×4, first 2 shown]
	v_add_f16_e32 v34, v34, v35
	v_add_f16_e32 v90, v90, v36
	v_fmamk_f16 v91, v91, 0x2b26, v83
	v_fma_f16 v95, v37, 0x39e0, -v95
	v_fma_f16 v37, v37, 0xb9e0, -v83
	v_fmamk_f16 v83, v78, 0x3574, v97
	v_fma_f16 v76, v76, 0x3b00, -v97
	v_add_f16_e32 v94, v94, v101
	v_add_f16_e32 v97, v103, v106
	v_sub_f16_e32 v28, v30, v28
	v_sub_f16_e32 v31, v33, v31
	v_fmamk_f16 v93, v93, 0x2b26, v89
	v_fma_f16 v96, v77, 0x39e0, -v96
	v_fma_f16 v77, v77, 0xb9e0, -v89
	v_fmamk_f16 v89, v82, 0x3574, v98
	v_fma_f16 v84, v84, 0x3b00, -v98
	v_fma_f16 v78, v78, 0xb574, -v99
	;; [unrolled: 1-line block ×3, first 2 shown]
	v_mul_f16_e32 v98, 0x3a52, v102
	v_mul_f16_e32 v99, 0x3a52, v104
	;; [unrolled: 1-line block ×8, first 2 shown]
	v_fmamk_f16 v35, v35, 0xbcab, v34
	v_fmamk_f16 v36, v36, 0xbcab, v90
	v_add_f16_e32 v16, v16, v94
	v_add_f16_e32 v17, v17, v97
	;; [unrolled: 1-line block ×4, first 2 shown]
	v_fmac_f16_e32 v83, 0x370e, v75
	v_fmac_f16_e32 v89, 0x370e, v87
	;; [unrolled: 1-line block ×6, first 2 shown]
	v_pack_b32_f16 v34, v34, v90
	v_fmamk_f16 v75, v92, 0x2b26, v98
	v_fmamk_f16 v87, v105, 0x2b26, v99
	v_fma_f16 v90, v107, 0x39e0, -v100
	v_fma_f16 v92, v108, 0x39e0, -v101
	;; [unrolled: 1-line block ×4, first 2 shown]
	v_fmamk_f16 v105, v28, 0x3574, v102
	v_fmamk_f16 v107, v31, 0x3574, v103
	v_fma_f16 v108, v29, 0x3b00, -v102
	v_fma_f16 v32, v32, 0x3b00, -v103
	;; [unrolled: 1-line block ×4, first 2 shown]
	v_add_f16_e32 v29, v91, v35
	v_add_f16_e32 v91, v93, v36
	;; [unrolled: 1-line block ×6, first 2 shown]
	v_fmamk_f16 v37, v94, 0xbcab, v16
	v_fmamk_f16 v77, v97, 0xbcab, v17
	v_fmac_f16_e32 v105, 0x370e, v30
	v_fmac_f16_e32 v107, 0x370e, v33
	v_fmac_f16_e32 v108, 0x370e, v30
	v_fmac_f16_e32 v32, 0x370e, v33
	v_fmac_f16_e32 v28, 0x370e, v30
	v_fmac_f16_e32 v31, 0x370e, v33
	v_add_f16_e32 v30, v89, v29
	v_sub_f16_e32 v33, v91, v83
	v_add_f16_e32 v94, v82, v35
	v_sub_f16_e32 v96, v36, v78
	v_sub_f16_e32 v97, v93, v84
	v_add_f16_e32 v100, v76, v95
	v_sub_f16_e32 v35, v35, v82
	v_add_f16_e32 v36, v78, v36
	;; [unrolled: 2-line block ×3, first 2 shown]
	v_add_f16_e32 v75, v75, v37
	v_add_f16_e32 v82, v87, v77
	;; [unrolled: 1-line block ×7, first 2 shown]
	v_sub_f16_e32 v76, v95, v76
	v_pack_b32_f16 v30, v30, v33
	v_pack_b32_f16 v33, v94, v96
	;; [unrolled: 1-line block ×5, first 2 shown]
	v_add_f16_e32 v101, v107, v75
	v_sub_f16_e32 v102, v82, v105
	v_add_f16_e32 v29, v31, v37
	v_sub_f16_e32 v98, v77, v28
	v_sub_f16_e32 v99, v83, v32
	v_add_f16_e32 v100, v108, v87
	v_add_f16_e32 v92, v32, v83
	v_sub_f16_e32 v93, v87, v108
	v_sub_f16_e32 v94, v37, v31
	v_add_f16_e32 v95, v28, v77
	v_sub_f16_e32 v96, v75, v107
	v_add_f16_e32 v97, v105, v82
	v_pack_b32_f16 v76, v84, v76
	ds_store_2addr_b32 v74, v34, v30 offset1:33
	ds_store_2addr_b32 v74, v33, v89 offset0:66 offset1:99
	ds_store_2addr_b32 v74, v76, v35 offset0:132 offset1:165
	ds_store_b32 v74, v36 offset:792
	s_and_saveexec_b32 s10, s1
	s_cbranch_execz .LBB0_15
; %bb.14:
	v_lshlrev_b32_e32 v28, 2, v67
	v_perm_b32 v16, v17, v16, 0x5040100
	v_perm_b32 v17, v102, v101, 0x5040100
	;; [unrolled: 1-line block ×4, first 2 shown]
	v_add_nc_u32_e32 v32, 0x1800, v28
	v_perm_b32 v33, v93, v92, 0x5040100
	v_perm_b32 v34, v95, v94, 0x5040100
	;; [unrolled: 1-line block ×3, first 2 shown]
	ds_store_2addr_b32 v32, v16, v17 offset0:81 offset1:114
	ds_store_2addr_b32 v32, v30, v31 offset0:147 offset1:180
	;; [unrolled: 1-line block ×3, first 2 shown]
	ds_store_b32 v28, v35 offset:7260
.LBB0_15:
	s_wait_alu 0xfffe
	s_or_b32 exec_lo, exec_lo, s10
	v_lshlrev_b32_e32 v28, 2, v18
	global_wb scope:SCOPE_SE
	s_wait_dscnt 0x0
	s_barrier_signal -1
	s_barrier_wait -1
	global_inv scope:SCOPE_SE
	global_load_b96 v[16:18], v28, s[2:3] offset:912
	v_add_nc_u32_e32 v106, 0x700, v38
	v_add_nc_u32_e32 v87, 0xe40, v38
	v_add_nc_u32_e32 v89, 0x1580, v38
	ds_load_2addr_b32 v[30:31], v38 offset1:231
	ds_load_2addr_b32 v[32:33], v106 offset0:14 offset1:245
	ds_load_2addr_b32 v[34:35], v87 offset0:12 offset1:243
	ds_load_2addr_b32 v[36:37], v89 offset0:10 offset1:241
	v_lshlrev_b32_e32 v75, 3, v45
	v_add_co_u32 v28, s2, s2, v28
	s_wait_alu 0xf1ff
	v_add_co_ci_u32_e64 v76, null, s3, 0, s2
	global_wb scope:SCOPE_SE
	s_wait_loadcnt_dscnt 0x0
	s_barrier_signal -1
	s_barrier_wait -1
	global_inv scope:SCOPE_SE
	v_lshrrev_b32_e32 v77, 16, v30
	v_lshrrev_b32_e32 v90, 16, v32
	;; [unrolled: 1-line block ×11, first 2 shown]
	s_delay_alu instid0(VALU_DEP_3) | instskip(SKIP_1) | instid1(VALU_DEP_4)
	v_mul_f16_e32 v108, v90, v84
	v_mul_f16_e32 v109, v32, v84
	;; [unrolled: 1-line block ×12, first 2 shown]
	v_fma_f16 v32, v32, v16, -v108
	v_fmac_f16_e32 v109, v90, v16
	v_fma_f16 v34, v34, v17, -v110
	v_fmac_f16_e32 v111, v91, v17
	;; [unrolled: 2-line block ×6, first 2 shown]
	v_sub_f16_e32 v34, v30, v34
	v_sub_f16_e32 v90, v77, v111
	;; [unrolled: 1-line block ×8, first 2 shown]
	v_fma_f16 v30, v30, 2.0, -v34
	v_fma_f16 v77, v77, 2.0, -v90
	;; [unrolled: 1-line block ×8, first 2 shown]
	v_sub_f16_e32 v32, v30, v32
	v_sub_f16_e32 v105, v77, v105
	;; [unrolled: 1-line block ×3, first 2 shown]
	v_add_f16_e32 v36, v90, v36
	v_sub_f16_e32 v33, v31, v33
	v_sub_f16_e32 v107, v78, v107
	v_sub_f16_e32 v104, v35, v104
	v_add_f16_e32 v37, v103, v37
	v_fma_f16 v30, v30, 2.0, -v32
	v_fma_f16 v77, v77, 2.0, -v105
	;; [unrolled: 1-line block ×8, first 2 shown]
	v_pack_b32_f16 v77, v30, v77
	v_sub_co_u32 v30, s2, v28, v75
	v_pack_b32_f16 v34, v34, v90
	v_pack_b32_f16 v78, v31, v78
	s_wait_alu 0xf1ff
	v_subrev_co_ci_u32_e64 v31, s2, 0, v76, s2
	v_pack_b32_f16 v36, v91, v36
	v_pack_b32_f16 v32, v32, v105
	;; [unrolled: 1-line block ×5, first 2 shown]
	ds_store_2addr_b32 v38, v77, v34 offset1:231
	ds_store_2addr_b32 v106, v32, v36 offset0:14 offset1:245
	ds_store_2addr_b32 v87, v78, v35 offset0:12 offset1:243
	;; [unrolled: 1-line block ×3, first 2 shown]
	global_wb scope:SCOPE_SE
	s_wait_dscnt 0x0
	s_barrier_signal -1
	s_barrier_wait -1
	global_inv scope:SCOPE_SE
	s_clause 0x3
	global_load_b32 v75, v[30:31], off offset:3684
	global_load_b32 v77, v[30:31], off offset:4608
	;; [unrolled: 1-line block ×4, first 2 shown]
	ds_load_2addr_b32 v[30:31], v38 offset1:231
	ds_load_2addr_b32 v[32:33], v87 offset0:12 offset1:243
	ds_load_2addr_b32 v[34:35], v106 offset0:14 offset1:245
	;; [unrolled: 1-line block ×3, first 2 shown]
	v_add_nc_u32_e32 v107, 0x1200, v38
	s_add_nc_u64 s[2:3], s[16:17], 0x1ce0
	s_wait_dscnt 0x3
	v_lshrrev_b32_e32 v28, 16, v30
	s_wait_dscnt 0x2
	v_lshrrev_b32_e32 v103, 16, v32
	v_lshrrev_b32_e32 v104, 16, v33
	s_wait_dscnt 0x0
	v_lshrrev_b32_e32 v105, 16, v36
	v_lshrrev_b32_e32 v111, 16, v37
	;; [unrolled: 1-line block ×5, first 2 shown]
	s_wait_loadcnt 0x3
	v_lshrrev_b32_e32 v91, 16, v75
	s_wait_loadcnt 0x2
	v_lshrrev_b32_e32 v90, 16, v77
	;; [unrolled: 2-line block ×4, first 2 shown]
	v_mul_f16_e32 v112, v103, v91
	v_mul_f16_e32 v113, v32, v91
	;; [unrolled: 1-line block ×8, first 2 shown]
	v_fma_f16 v32, v32, v75, -v112
	v_fmac_f16_e32 v113, v103, v75
	v_fma_f16 v33, v33, v77, -v114
	v_fmac_f16_e32 v115, v104, v77
	;; [unrolled: 2-line block ×4, first 2 shown]
	v_sub_f16_e32 v32, v30, v32
	v_sub_f16_e32 v111, v28, v113
	;; [unrolled: 1-line block ×8, first 2 shown]
	v_fma_f16 v30, v30, 2.0, -v32
	v_fma_f16 v37, v28, 2.0, -v111
	;; [unrolled: 1-line block ×8, first 2 shown]
	v_pack_b32_f16 v32, v32, v111
	v_pack_b32_f16 v30, v30, v37
	;; [unrolled: 1-line block ×8, first 2 shown]
	ds_store_b32 v38, v32 offset:3696
	ds_store_2addr_b32 v38, v30, v31 offset1:231
	ds_store_2addr_b32 v107, v33, v35 offset0:3 offset1:234
	ds_store_2addr_b32 v106, v34, v36 offset0:14 offset1:245
	ds_store_b32 v38, v37 offset:6468
	global_wb scope:SCOPE_SE
	s_wait_dscnt 0x0
	s_barrier_signal -1
	s_barrier_wait -1
	global_inv scope:SCOPE_SE
	s_clause 0x5
	global_load_b32 v32, v[19:20], off offset:7392
	global_load_b32 v36, v38, s[2:3] offset:5852
	global_load_b32 v37, v38, s[2:3] offset:3388
	;; [unrolled: 1-line block ×5, first 2 shown]
	ds_load_2addr_b32 v[30:31], v38 offset1:231
	s_wait_dscnt 0x0
	v_lshrrev_b32_e32 v34, 16, v30
	v_lshrrev_b32_e32 v108, 16, v31
	s_wait_loadcnt 0x5
	v_lshrrev_b32_e32 v35, 16, v32
	s_wait_loadcnt 0x4
	;; [unrolled: 2-line block ×3, first 2 shown]
	v_lshrrev_b32_e32 v109, 16, v33
	v_mul_f16_e32 v110, v34, v35
	v_mul_f16_e32 v35, v30, v35
	s_delay_alu instid0(VALU_DEP_3) | instskip(SKIP_1) | instid1(VALU_DEP_4)
	v_mul_f16_e32 v111, v108, v109
	v_mul_f16_e32 v109, v31, v109
	v_fma_f16 v30, v30, v32, -v110
	s_delay_alu instid0(VALU_DEP_4)
	v_fmac_f16_e32 v35, v34, v32
	s_wait_loadcnt 0x0
	v_lshrrev_b32_e32 v110, 16, v107
	v_fma_f16 v32, v31, v33, -v111
	v_fmac_f16_e32 v109, v108, v33
	v_add_nc_u32_e32 v31, 0x1300, v38
	v_pack_b32_f16 v33, v30, v35
	v_add_nc_u32_e32 v30, 0x980, v38
	v_lshrrev_b32_e32 v111, 16, v37
	v_pack_b32_f16 v108, v32, v109
	v_lshrrev_b32_e32 v109, 16, v106
	ds_store_b32 v38, v33
	ds_load_2addr_b32 v[32:33], v30 offset0:8 offset1:239
	ds_load_2addr_b32 v[34:35], v31 offset0:16 offset1:247
	s_wait_dscnt 0x1
	v_lshrrev_b32_e32 v113, 16, v32
	v_lshrrev_b32_e32 v117, 16, v33
	s_wait_dscnt 0x0
	v_lshrrev_b32_e32 v115, 16, v34
	v_lshrrev_b32_e32 v119, 16, v35
	v_mul_f16_e32 v114, v32, v109
	v_mul_f16_e32 v118, v33, v111
	;; [unrolled: 1-line block ×8, first 2 shown]
	v_fmac_f16_e32 v114, v113, v106
	v_fmac_f16_e32 v118, v117, v37
	v_fma_f16 v32, v32, v106, -v109
	v_fma_f16 v33, v33, v37, -v111
	v_fmac_f16_e32 v116, v115, v107
	v_fmac_f16_e32 v120, v119, v36
	v_fma_f16 v34, v34, v107, -v110
	v_fma_f16 v35, v35, v36, -v112
	v_pack_b32_f16 v32, v32, v114
	v_pack_b32_f16 v33, v33, v118
	s_delay_alu instid0(VALU_DEP_4) | instskip(NEXT) | instid1(VALU_DEP_4)
	v_pack_b32_f16 v34, v34, v116
	v_pack_b32_f16 v35, v35, v120
	ds_store_b32 v38, v108 offset:924
	ds_store_2addr_b32 v30, v32, v33 offset0:8 offset1:239
	ds_store_2addr_b32 v31, v34, v35 offset0:16 offset1:247
	s_and_saveexec_b32 s10, vcc_lo
	s_cbranch_execz .LBB0_17
; %bb.16:
	s_wait_alu 0xfffe
	v_add_co_u32 v32, s2, s2, v38
	s_wait_alu 0xf1ff
	v_add_co_ci_u32_e64 v33, null, s3, 0, s2
	s_clause 0x2
	global_load_b32 v34, v[32:33], off offset:1848
	global_load_b32 v35, v[32:33], off offset:4312
	;; [unrolled: 1-line block ×3, first 2 shown]
	ds_load_b32 v33, v38 offset:1848
	ds_load_b32 v36, v38 offset:4312
	;; [unrolled: 1-line block ×3, first 2 shown]
	s_wait_dscnt 0x2
	v_lshrrev_b32_e32 v106, 16, v33
	s_wait_dscnt 0x1
	v_lshrrev_b32_e32 v108, 16, v36
	;; [unrolled: 2-line block ×3, first 2 shown]
	s_wait_loadcnt 0x2
	v_lshrrev_b32_e32 v107, 16, v34
	s_wait_loadcnt 0x1
	v_lshrrev_b32_e32 v109, 16, v35
	;; [unrolled: 2-line block ×3, first 2 shown]
	v_mul_f16_e32 v112, v106, v107
	v_mul_f16_e32 v107, v33, v107
	;; [unrolled: 1-line block ×6, first 2 shown]
	v_fma_f16 v33, v33, v34, -v112
	v_fmac_f16_e32 v107, v106, v34
	v_fma_f16 v34, v36, v35, -v113
	v_fmac_f16_e32 v109, v108, v35
	;; [unrolled: 2-line block ×3, first 2 shown]
	v_pack_b32_f16 v32, v33, v107
	s_delay_alu instid0(VALU_DEP_4) | instskip(NEXT) | instid1(VALU_DEP_3)
	v_pack_b32_f16 v33, v34, v109
	v_pack_b32_f16 v34, v35, v111
	ds_store_b32 v38, v32 offset:1848
	ds_store_b32 v38, v33 offset:4312
	;; [unrolled: 1-line block ×3, first 2 shown]
.LBB0_17:
	s_wait_alu 0xfffe
	s_or_b32 exec_lo, exec_lo, s10
	global_wb scope:SCOPE_SE
	s_wait_dscnt 0x0
	s_barrier_signal -1
	s_barrier_wait -1
	global_inv scope:SCOPE_SE
	ds_load_2addr_b32 v[33:34], v38 offset1:231
	ds_load_2addr_b32 v[35:36], v30 offset0:8 offset1:239
	ds_load_2addr_b32 v[31:32], v31 offset0:16 offset1:247
	s_and_saveexec_b32 s2, vcc_lo
	s_cbranch_execz .LBB0_19
; %bb.18:
	ds_load_b32 v28, v38 offset:1848
	ds_load_b32 v104, v38 offset:4312
	;; [unrolled: 1-line block ×3, first 2 shown]
	s_wait_dscnt 0x2
	v_lshrrev_b32_e32 v103, 16, v28
	s_wait_dscnt 0x1
	v_lshrrev_b32_e32 v105, 16, v104
	;; [unrolled: 2-line block ×3, first 2 shown]
.LBB0_19:
	s_wait_alu 0xfffe
	s_or_b32 exec_lo, exec_lo, s2
	s_wait_dscnt 0x0
	v_pk_add_f16 v30, v35, v31
	v_pk_add_f16 v37, v35, v31 neg_lo:[0,1] neg_hi:[0,1]
	v_pk_add_f16 v35, v33, v35
	v_pk_add_f16 v106, v36, v32
	v_pk_add_f16 v107, v36, v32 neg_lo:[0,1] neg_hi:[0,1]
	v_pk_fma_f16 v108, v30, 0.5, v33 op_sel_hi:[1,0,1] neg_lo:[1,0,0] neg_hi:[1,0,0]
	v_pk_add_f16 v33, v34, v36
	v_pk_add_f16 v30, v35, v31
	v_add_f16_e32 v35, v101, v104
	v_pk_mul_f16 v109, 0x3aee, v37 op_sel_hi:[0,1]
	v_add_f16_e32 v36, v105, v103
	v_pk_add_f16 v37, v33, v32
	v_add_f16_e32 v32, v102, v105
	v_pk_fma_f16 v106, v106, 0.5, v34 op_sel_hi:[1,0,1] neg_lo:[1,0,0] neg_hi:[1,0,0]
	v_pk_mul_f16 v107, 0x3aee, v107 op_sel_hi:[0,1]
	v_add_f16_e32 v33, v104, v28
	v_fmac_f16_e32 v28, -0.5, v35
	v_sub_f16_e32 v35, v105, v102
	v_fmac_f16_e32 v103, -0.5, v32
	v_sub_f16_e32 v104, v104, v101
	v_pk_add_f16 v31, v108, v109 op_sel:[0,1] op_sel_hi:[1,0] neg_lo:[0,1] neg_hi:[0,1]
	v_add_f16_e32 v102, v102, v36
	v_pk_add_f16 v36, v108, v109 op_sel:[0,1] op_sel_hi:[1,0]
	v_pk_add_f16 v34, v106, v107 op_sel:[0,1] op_sel_hi:[1,0] neg_lo:[0,1] neg_hi:[0,1]
	v_add_f16_e32 v32, v101, v33
	v_fmamk_f16 v33, v35, 0xbaee, v28
	v_fmac_f16_e32 v28, 0x3aee, v35
	v_pk_add_f16 v35, v106, v107 op_sel:[0,1] op_sel_hi:[1,0]
	v_fmamk_f16 v101, v104, 0x3aee, v103
	v_fmac_f16_e32 v103, 0xbaee, v104
	v_bfi_b32 v104, 0xffff, v36, v31
	v_bfi_b32 v105, 0xffff, v31, v36
	;; [unrolled: 1-line block ×4, first 2 shown]
	global_wb scope:SCOPE_SE
	s_barrier_signal -1
	s_barrier_wait -1
	global_inv scope:SCOPE_SE
	ds_store_b32 v55, v30
	ds_store_2addr_b32 v55, v105, v104 offset0:1 offset1:2
	ds_store_b32 v56, v37
	ds_store_2addr_b32 v56, v107, v106 offset0:1 offset1:2
	s_and_saveexec_b32 s2, vcc_lo
	s_cbranch_execz .LBB0_21
; %bb.20:
	v_lshlrev_b32_e32 v54, 2, v54
	v_perm_b32 v55, v101, v33, 0x5040100
	v_perm_b32 v56, v102, v32, 0x5040100
	;; [unrolled: 1-line block ×3, first 2 shown]
	ds_store_2addr_b32 v54, v56, v55 offset1:1
	ds_store_b32 v54, v104 offset:8
.LBB0_21:
	s_wait_alu 0xfffe
	s_or_b32 exec_lo, exec_lo, s2
	v_lshrrev_b32_e32 v106, 16, v31
	v_lshrrev_b32_e32 v104, 16, v34
	;; [unrolled: 1-line block ×4, first 2 shown]
	global_wb scope:SCOPE_SE
	s_wait_dscnt 0x0
	s_barrier_signal -1
	s_barrier_wait -1
	global_inv scope:SCOPE_SE
	s_and_saveexec_b32 s2, s0
	s_cbranch_execz .LBB0_23
; %bb.22:
	v_add_nc_u32_e32 v28, 0x400, v38
	v_add_nc_u32_e32 v29, 0xa00, v38
	;; [unrolled: 1-line block ×4, first 2 shown]
	ds_load_2addr_b32 v[30:31], v38 offset1:168
	ds_load_2addr_b32 v[36:37], v28 offset0:80 offset1:248
	ds_load_2addr_b32 v[34:35], v29 offset0:32 offset1:200
	;; [unrolled: 1-line block ×4, first 2 shown]
	ds_load_b32 v99, v38 offset:6720
	s_wait_dscnt 0x4
	v_lshrrev_b32_e32 v106, 16, v36
	s_wait_dscnt 0x3
	v_lshrrev_b32_e32 v105, 16, v34
	v_lshrrev_b32_e32 v104, 16, v35
	;; [unrolled: 1-line block ×3, first 2 shown]
	s_wait_dscnt 0x2
	v_lshrrev_b32_e32 v102, 16, v32
	v_lshrrev_b32_e32 v101, 16, v33
	s_wait_dscnt 0x1
	v_lshrrev_b32_e32 v103, 16, v28
	v_lshrrev_b32_e32 v98, 16, v29
	s_wait_dscnt 0x0
	v_lshrrev_b32_e32 v100, 16, v99
.LBB0_23:
	s_wait_alu 0xfffe
	s_or_b32 exec_lo, exec_lo, s2
	v_mul_f16_e32 v55, v66, v56
	v_mul_f16_e32 v66, v66, v31
	v_mul_f16_e32 v54, v65, v106
	v_lshrrev_b32_e32 v107, 16, v37
	global_wb scope:SCOPE_SE
	v_fmac_f16_e32 v55, v4, v31
	v_fma_f16 v56, v4, v56, -v66
	v_mul_f16_e32 v4, v65, v36
	v_fmac_f16_e32 v54, v5, v36
	v_mul_f16_e32 v36, v63, v105
	v_mul_f16_e32 v31, v64, v107
	;; [unrolled: 1-line block ×3, first 2 shown]
	v_fma_f16 v64, v5, v106, -v4
	v_mul_f16_e32 v4, v63, v34
	v_fmac_f16_e32 v36, v7, v34
	v_mul_f16_e32 v34, v62, v104
	v_mul_f16_e32 v5, v62, v35
	v_fmac_f16_e32 v31, v6, v37
	v_fma_f16 v62, v7, v105, -v4
	v_mul_f16_e32 v37, v61, v102
	v_mul_f16_e32 v4, v61, v32
	v_fmac_f16_e32 v34, v0, v35
	v_fma_f16 v35, v0, v104, -v5
	v_mul_f16_e32 v0, v60, v99
	v_mul_f16_e32 v60, v60, v100
	v_fma_f16 v63, v6, v107, -v65
	v_fmac_f16_e32 v37, v1, v32
	v_fma_f16 v65, v1, v102, -v4
	v_fma_f16 v32, v23, v100, -v0
	v_fmac_f16_e32 v60, v23, v99
	v_mul_f16_e32 v23, v57, v98
	v_mul_f16_e32 v1, v57, v29
	v_mul_f16_e32 v61, v59, v101
	v_mul_f16_e32 v0, v59, v33
	v_sub_f16_e32 v123, v56, v32
	v_fmac_f16_e32 v23, v22, v29
	v_fma_f16 v22, v22, v98, -v1
	v_mul_f16_e32 v59, v58, v103
	v_fmac_f16_e32 v61, v2, v33
	v_fma_f16 v33, v2, v101, -v0
	v_mul_f16_e32 v0, v58, v28
	v_add_f16_e32 v115, v60, v55
	v_mul_f16_e32 v58, 0xb853, v123
	v_add_f16_e32 v119, v32, v56
	v_sub_f16_e64 v135, v64, v22
	v_sub_f16_e64 v132, v55, v60
	v_add_f16_e64 v131, v22, v64
	v_fma_f16 v2, v115, 0x3abb, -v58
	v_mul_f16_e32 v57, 0x3abb, v119
	v_mul_f16_e32 v102, 0x36a6, v119
	v_add_f16_e32 v124, v23, v54
	v_mul_f16_e64 v66, 0xbb47, v135
	v_fmac_f16_e32 v59, v3, v28
	v_fma_f16 v28, v3, v103, -v0
	v_add_f16_e32 v0, v30, v2
	v_fma_f16 v1, 0xb853, v132, v57
	v_mul_f16_e32 v104, 0xbbeb, v123
	v_lshrrev_b32_e32 v29, 16, v30
	v_fma_f16 v3, 0xbb47, v132, v102
	v_mul_f16_e32 v114, 0xba0c, v123
	v_sub_f16_e64 v141, v54, v23
	v_mul_f16_e64 v98, 0x36a6, v131
	v_fma_f16 v100, v124, 0x36a6, -v66
	v_mul_f16_e64 v109, 0xb93d, v131
	v_mul_f16_e32 v99, 0xbb47, v123
	v_fma_f16 v4, v115, 0xb08e, -v104
	v_add_f16_e32 v1, v29, v1
	v_add_f16_e32 v3, v29, v3
	v_mul_f16_e32 v121, 0xb93d, v119
	v_fma_f16 v6, v115, 0xb93d, -v114
	v_fma_f16 v101, 0xbb47, v141, v98
	v_add_f16_e32 v0, v100, v0
	v_mul_f16_e64 v110, 0x3482, v135
	v_fma_f16 v100, 0xba0c, v141, v109
	v_mul_f16_e64 v122, 0x3beb, v135
	v_mul_f16_e32 v108, 0xb08e, v119
	v_fma_f16 v2, v115, 0x36a6, -v99
	v_add_f16_e32 v4, v30, v4
	v_fma_f16 v7, 0xba0c, v132, v121
	v_mul_f16_e64 v103, 0xba0c, v135
	v_add_f16_e32 v6, v30, v6
	v_add_f16_e32 v1, v101, v1
	v_fma_f16 v101, v124, 0xbbad, -v110
	v_mul_f16_e64 v128, 0xb08e, v131
	v_add_f16_e32 v3, v100, v3
	v_fma_f16 v100, v124, 0xb08e, -v122
	v_sub_f16_e64 v143, v63, v28
	v_fma_f16 v5, 0xbbeb, v132, v108
	v_add_f16_e32 v2, v30, v2
	v_add_f16_e32 v7, v29, v7
	v_fma_f16 v105, v124, 0xb93d, -v103
	v_mul_f16_e64 v118, 0xbbad, v131
	v_add_f16_e32 v4, v101, v4
	v_fma_f16 v101, 0x3beb, v141, v128
	v_add_f16_e32 v6, v100, v6
	v_add_f16_e64 v137, v28, v63
	v_add_f16_e64 v133, v59, v31
	v_mul_f16_e64 v100, 0xbbeb, v143
	v_add_f16_e32 v5, v29, v5
	v_add_f16_e32 v2, v105, v2
	v_fma_f16 v105, 0x3482, v141, v118
	v_add_f16_e32 v7, v101, v7
	v_sub_f16_e64 v149, v31, v59
	v_mul_f16_e64 v101, 0xb08e, v137
	v_fma_f16 v106, v133, 0xb08e, -v100
	v_mul_f16_e64 v120, 0x3b47, v143
	v_add_f16_e32 v5, v105, v5
	v_mul_f16_e64 v105, 0x3482, v143
	v_mul_f16_e64 v116, 0xbbad, v137
	v_fma_f16 v107, 0xbbeb, v149, v101
	v_add_f16_e32 v0, v106, v0
	v_fma_f16 v106, v133, 0x36a6, -v120
	v_mul_f16_e64 v127, 0x36a6, v137
	v_sub_f16_e64 v148, v62, v33
	v_add_f16_e64 v146, v33, v62
	v_fma_f16 v111, v133, 0xbbad, -v105
	v_fma_f16 v112, 0x3482, v149, v116
	v_add_f16_e32 v1, v107, v1
	v_add_f16_e32 v4, v106, v4
	v_mul_f16_e64 v134, 0xb853, v143
	v_fma_f16 v107, 0x3b47, v149, v127
	v_add_f16_e64 v139, v61, v36
	v_mul_f16_e64 v106, 0xba0c, v148
	v_sub_f16_e64 v152, v36, v61
	v_mul_f16_e64 v125, 0xb08e, v146
	v_add_f16_e32 v2, v111, v2
	v_add_f16_e32 v3, v112, v3
	v_mul_f16_e64 v138, 0x3abb, v137
	v_fma_f16 v111, v133, 0x3abb, -v134
	v_add_f16_e32 v5, v107, v5
	v_fma_f16 v113, v139, 0xb93d, -v106
	v_mul_f16_e64 v107, 0xb93d, v146
	v_mul_f16_e64 v130, 0xb853, v148
	v_fma_f16 v117, 0x3beb, v152, v125
	v_add_f16_e64 v151, v65, v35
	v_fma_f16 v112, 0xb853, v149, v138
	v_add_f16_e32 v6, v111, v6
	v_add_f16_e32 v0, v113, v0
	v_mul_f16_e64 v113, 0x3beb, v148
	v_mul_f16_e64 v136, 0x3abb, v146
	v_fma_f16 v111, 0xba0c, v152, v107
	v_fma_f16 v126, v139, 0x3abb, -v130
	v_add_f16_e32 v3, v117, v3
	v_sub_f16_e64 v153, v35, v65
	v_mul_f16_e64 v147, 0xbbad, v146
	v_sub_f16_e64 v154, v34, v37
	v_mul_f16_e64 v117, 0xbbad, v151
	v_add_f16_e32 v7, v112, v7
	v_fma_f16 v112, v139, 0xb08e, -v113
	v_fma_f16 v129, 0xb853, v152, v136
	v_add_f16_e64 v142, v111, v1
	v_add_f16_e64 v155, v126, v4
	v_mul_f16_e64 v140, 0xb482, v148
	v_add_f16_e64 v145, v37, v34
	v_mul_f16_e64 v111, 0xb482, v153
	v_fma_f16 v4, 0xb482, v152, v147
	v_fma_f16 v126, 0xb482, v154, v117
	v_add_f16_e32 v2, v112, v2
	v_add_f16_e64 v156, v129, v5
	v_fma_f16 v1, v139, 0xbbad, -v140
	v_mul_f16_e64 v112, 0x3853, v153
	v_fma_f16 v5, v145, 0xbbad, -v111
	v_add_f16_e64 v158, v4, v7
	v_add_f16_e64 v4, v126, v142
	v_mul_f16_e64 v126, 0x3abb, v151
	v_mul_f16_e64 v129, 0xba0c, v153
	;; [unrolled: 1-line block ×5, first 2 shown]
	v_add_f16_e64 v157, v1, v6
	v_fma_f16 v6, v145, 0x3abb, -v112
	v_add_f16_e32 v1, v5, v0
	v_fma_f16 v0, 0x3853, v154, v126
	v_fma_f16 v5, v145, 0xb93d, -v129
	v_fma_f16 v7, 0xba0c, v154, v142
	v_fma_f16 v159, v145, 0x36a6, -v144
	v_fma_f16 v160, 0x3b47, v154, v150
	v_add_f16_e32 v2, v6, v2
	v_add_f16_e32 v6, v0, v3
	v_add_f16_e64 v5, v5, v155
	v_add_f16_e64 v7, v7, v156
	;; [unrolled: 1-line block ×4, first 2 shown]
	s_barrier_signal -1
	s_barrier_wait -1
	global_inv scope:SCOPE_SE
	s_and_saveexec_b32 s2, s0
	s_cbranch_execz .LBB0_25
; %bb.24:
	v_mul_f16_e64 v156, 0xb853, v132
	v_mul_f16_e64 v158, 0xbb47, v132
	;; [unrolled: 1-line block ×5, first 2 shown]
	v_add_f16_e32 v55, v30, v55
	v_add_f16_e32 v56, v56, v29
	v_mul_f16_e64 v164, 0xbb47, v141
	v_mul_f16_e64 v166, 0xba0c, v141
	;; [unrolled: 1-line block ×4, first 2 shown]
	v_fma_f16 v189, 0xbbad, v119, v132
	v_mul_f16_e64 v141, 0x3853, v141
	v_fma_f16 v119, v119, 0xbbad, -v132
	v_add_f16_e32 v54, v54, v55
	v_add_f16_e32 v56, v64, v56
	v_mul_f16_e64 v172, 0xbbeb, v149
	v_mul_f16_e64 v174, 0x3482, v149
	;; [unrolled: 1-line block ×4, first 2 shown]
	v_fma_f16 v193, 0x3abb, v131, v141
	v_mul_f16_e64 v149, 0xba0c, v149
	v_mul_f16_e32 v123, 0xb482, v123
	v_add_f16_e32 v119, v29, v119
	v_fma_f16 v131, v131, 0x3abb, -v141
	v_add_f16_e32 v31, v31, v54
	v_add_f16_e32 v56, v63, v56
	v_mul_f16_e64 v155, 0x3abb, v115
	v_mul_f16_e64 v157, 0x36a6, v115
	;; [unrolled: 1-line block ×9, first 2 shown]
	v_fma_f16 v197, v115, 0xbbad, -v123
	v_fmac_f16_e32 v123, 0xbbad, v115
	v_add_f16_e64 v115, v131, v119
	v_fma_f16 v119, v137, 0xb93d, -v149
	v_add_f16_e32 v31, v36, v31
	v_add_f16_e32 v56, v62, v56
	v_mul_f16_e64 v163, 0x36a6, v124
	v_sub_f16_e64 v121, v121, v162
	v_add_f16_e32 v115, v119, v115
	v_fma_f16 v119, v146, 0x36a6, -v152
	v_add_f16_e64 v114, v161, v114
	v_sub_f16_e64 v108, v108, v160
	v_add_f16_e64 v104, v159, v104
	v_sub_f16_e64 v102, v102, v158
	v_add_f16_e64 v99, v157, v99
	v_sub_f16_e64 v57, v57, v156
	v_add_f16_e64 v36, v155, v58
	v_add_f16_e32 v31, v34, v31
	v_add_f16_e32 v34, v35, v56
	v_mul_f16_e64 v165, 0xb93d, v124
	v_mul_f16_e64 v167, 0xbbad, v124
	;; [unrolled: 1-line block ×3, first 2 shown]
	v_add_f16_e64 v189, v29, v189
	v_add_f16_e64 v197, v30, v197
	v_add_f16_e32 v123, v30, v123
	v_add_f16_e32 v115, v119, v115
	;; [unrolled: 1-line block ×9, first 2 shown]
	v_sub_f16_e64 v57, v98, v164
	v_add_f16_e32 v30, v30, v36
	v_add_f16_e64 v35, v163, v66
	v_add_f16_e32 v31, v37, v31
	v_add_f16_e32 v34, v65, v34
	v_mul_f16_e64 v169, 0xb08e, v124
	v_mul_f16_e64 v135, 0x3853, v135
	v_sub_f16_e64 v121, v128, v170
	v_mul_f16_e64 v173, 0xbbad, v133
	v_mul_f16_e64 v175, 0x36a6, v133
	;; [unrolled: 1-line block ×3, first 2 shown]
	v_sub_f16_e64 v118, v118, v168
	v_add_f16_e64 v110, v167, v110
	v_sub_f16_e64 v109, v109, v166
	v_add_f16_e64 v103, v165, v103
	v_add_f16_e32 v29, v57, v29
	v_sub_f16_e64 v36, v101, v172
	v_add_f16_e32 v30, v35, v30
	v_add_f16_e64 v35, v171, v100
	v_add_f16_e32 v31, v61, v31
	v_add_f16_e32 v33, v33, v34
	v_mul_f16_e64 v177, 0x3abb, v133
	v_fma_f16 v198, v124, 0x3abb, -v135
	v_mul_f16_e64 v143, 0xba0c, v143
	v_fmac_f16_e64 v135, 0x3abb, v124
	v_add_f16_e32 v119, v121, v119
	v_sub_f16_e64 v121, v138, v178
	v_add_f16_e64 v122, v169, v122
	v_mul_f16_e64 v181, 0xb08e, v139
	v_mul_f16_e64 v183, 0x3abb, v139
	;; [unrolled: 1-line block ×4, first 2 shown]
	v_add_f16_e32 v108, v118, v108
	v_sub_f16_e64 v118, v127, v176
	v_add_f16_e32 v104, v110, v104
	v_add_f16_e64 v110, v175, v120
	v_add_f16_e32 v102, v109, v102
	v_sub_f16_e64 v109, v116, v174
	v_add_f16_e32 v99, v103, v99
	v_add_f16_e64 v103, v173, v105
	v_add_f16_e32 v29, v36, v29
	v_sub_f16_e64 v34, v107, v180
	v_add_f16_e32 v30, v35, v30
	v_add_f16_e32 v31, v59, v31
	v_add_f16_e64 v35, v179, v106
	v_add_f16_e32 v28, v28, v33
	v_mul_f16_e64 v185, 0xbbad, v139
	v_mul_f16_e64 v196, 0x3b47, v154
	v_add_f16_e64 v132, v198, v197
	v_fma_f16 v197, v133, 0xb93d, -v143
	v_mul_f16_e64 v148, 0x3b47, v148
	v_add_f16_e64 v123, v135, v123
	v_fmac_f16_e64 v143, 0xb93d, v133
	v_add_f16_e32 v119, v121, v119
	v_sub_f16_e64 v121, v147, v186
	v_add_f16_e32 v114, v122, v114
	v_add_f16_e64 v122, v177, v134
	v_add_f16_e64 v189, v193, v189
	v_fma_f16 v193, 0xb93d, v137, v149
	v_mul_f16_e64 v190, 0x3abb, v145
	v_mul_f16_e64 v191, 0x3853, v154
	;; [unrolled: 1-line block ×4, first 2 shown]
	v_add_f16_e32 v108, v118, v108
	v_sub_f16_e64 v118, v136, v184
	v_add_f16_e32 v104, v110, v104
	v_add_f16_e64 v110, v183, v130
	v_add_f16_e32 v102, v109, v102
	v_sub_f16_e64 v109, v125, v182
	v_add_f16_e32 v64, v103, v99
	v_add_f16_e64 v99, v181, v113
	v_add_f16_e32 v29, v34, v29
	v_sub_f16_e64 v33, v117, v188
	v_add_f16_e32 v23, v23, v31
	v_add_f16_e32 v30, v35, v30
	;; [unrolled: 1-line block ×3, first 2 shown]
	v_add_f16_e64 v28, v187, v111
	v_mul_f16_e64 v195, 0x36a6, v145
	v_mul_f16_e64 v154, 0xbbeb, v154
	v_add_f16_e64 v132, v197, v132
	v_fma_f16 v141, v139, 0x36a6, -v148
	v_mul_f16_e64 v153, 0xbbeb, v153
	v_add_f16_e64 v123, v143, v123
	v_fmac_f16_e64 v148, 0x36a6, v139
	v_add_f16_e32 v119, v121, v119
	v_sub_f16_e64 v121, v150, v196
	v_add_f16_e32 v114, v122, v114
	v_add_f16_e64 v122, v185, v140
	v_add_f16_e64 v189, v193, v189
	v_fma_f16 v193, 0x36a6, v146, v152
	v_add_f16_e32 v108, v118, v108
	v_sub_f16_e64 v118, v142, v194
	v_add_f16_e32 v104, v110, v104
	v_add_f16_e64 v105, v192, v129
	v_add_f16_e32 v55, v109, v102
	v_sub_f16_e64 v54, v126, v191
	v_add_f16_e32 v63, v99, v64
	v_add_f16_e32 v29, v33, v29
	;; [unrolled: 1-line block ×3, first 2 shown]
	v_mul_u32_u24_e32 v31, 33, v53
	v_add_f16_e32 v22, v32, v22
	v_add_f16_e32 v28, v28, v30
	v_add_f16_e64 v30, v190, v112
	v_add_f16_e64 v131, v141, v132
	v_fma_f16 v132, v145, 0xb08e, -v153
	v_fma_f16 v128, v151, 0xb08e, -v154
	v_add_f16_e64 v123, v148, v123
	v_fmac_f16_e64 v153, 0xb08e, v145
	v_add_f16_e32 v119, v121, v119
	v_add_f16_e32 v114, v122, v114
	v_add_f16_e64 v121, v195, v144
	v_add_f16_e64 v189, v193, v189
	v_fma_f16 v193, 0xb08e, v151, v154
	v_add_f16_e32 v108, v118, v108
	v_add_f16_e32 v32, v54, v55
	v_add_lshl_u32 v31, v31, v52, 2
	v_pack_b32_f16 v22, v23, v22
	v_pack_b32_f16 v23, v28, v29
	v_add_f16_e32 v28, v30, v63
	v_add_f16_e32 v29, v105, v104
	v_add_f16_e64 v115, v128, v115
	v_add_f16_e32 v30, v121, v114
	v_add_f16_e64 v33, v153, v123
	v_add_f16_e64 v189, v193, v189
	;; [unrolled: 1-line block ×3, first 2 shown]
	ds_store_2addr_b32 v31, v22, v23 offset1:3
	v_pack_b32_f16 v22, v28, v32
	v_pack_b32_f16 v23, v29, v108
	;; [unrolled: 1-line block ×5, first 2 shown]
	v_perm_b32 v32, v3, v0, 0x5040100
	v_perm_b32 v33, v7, v5, 0x5040100
	;; [unrolled: 1-line block ×4, first 2 shown]
	ds_store_2addr_b32 v31, v22, v23 offset0:6 offset1:9
	ds_store_2addr_b32 v31, v28, v29 offset0:12 offset1:15
	;; [unrolled: 1-line block ×4, first 2 shown]
	ds_store_b32 v31, v35 offset:120
.LBB0_25:
	s_wait_alu 0xfffe
	s_or_b32 exec_lo, exec_lo, s2
	global_wb scope:SCOPE_SE
	s_wait_dscnt 0x0
	s_barrier_signal -1
	s_barrier_wait -1
	global_inv scope:SCOPE_SE
	ds_load_b32 v22, v38
	ds_load_b32 v32, v38 offset:1056
	ds_load_b32 v31, v38 offset:2112
	;; [unrolled: 1-line block ×6, first 2 shown]
	s_and_saveexec_b32 s0, s1
	s_cbranch_execz .LBB0_27
; %bb.26:
	ds_load_b32 v0, v38 offset:924
	ds_load_b32 v5, v38 offset:1980
	;; [unrolled: 1-line block ×7, first 2 shown]
	s_wait_dscnt 0x6
	v_lshrrev_b32_e32 v3, 16, v0
	s_wait_dscnt 0x5
	v_lshrrev_b32_e32 v7, 16, v5
	;; [unrolled: 2-line block ×7, first 2 shown]
.LBB0_27:
	s_wait_alu 0xfffe
	s_or_b32 exec_lo, exec_lo, s0
	s_wait_dscnt 0x5
	v_lshrrev_b32_e32 v33, 16, v32
	s_wait_dscnt 0x4
	v_lshrrev_b32_e32 v35, 16, v31
	;; [unrolled: 2-line block ×3, first 2 shown]
	v_mul_f16_e32 v37, v88, v32
	s_wait_dscnt 0x2
	v_lshrrev_b32_e32 v53, 16, v29
	v_mul_f16_e32 v52, v88, v33
	s_wait_dscnt 0x1
	v_lshrrev_b32_e32 v54, 16, v23
	s_wait_dscnt 0x0
	v_lshrrev_b32_e32 v55, 16, v28
	v_fma_f16 v33, v12, v33, -v37
	v_mul_f16_e32 v37, v85, v36
	v_fmac_f16_e32 v52, v12, v32
	v_mul_f16_e32 v12, v86, v35
	v_mul_f16_e32 v32, v86, v31
	;; [unrolled: 1-line block ×4, first 2 shown]
	v_fmac_f16_e32 v37, v14, v30
	v_fmac_f16_e32 v12, v13, v31
	v_fma_f16 v13, v13, v35, -v32
	v_mul_f16_e32 v30, v81, v55
	v_mul_f16_e32 v31, v81, v28
	;; [unrolled: 1-line block ×4, first 2 shown]
	v_fmac_f16_e32 v57, v15, v29
	v_mul_f16_e32 v29, v80, v29
	v_fmac_f16_e32 v30, v27, v28
	v_fma_f16 v27, v27, v55, -v31
	v_fmac_f16_e32 v32, v26, v23
	v_fma_f16 v23, v26, v54, -v35
	v_fma_f16 v14, v14, v36, -v56
	;; [unrolled: 1-line block ×3, first 2 shown]
	v_add_f16_e32 v26, v52, v30
	v_add_f16_e32 v28, v33, v27
	v_sub_f16_e32 v29, v52, v30
	v_add_f16_e32 v30, v12, v32
	v_add_f16_e32 v31, v13, v23
	v_sub_f16_e32 v27, v33, v27
	v_sub_f16_e32 v12, v12, v32
	;; [unrolled: 1-line block ×3, first 2 shown]
	v_add_f16_e32 v23, v37, v57
	v_add_f16_e32 v32, v14, v15
	v_sub_f16_e32 v33, v57, v37
	v_sub_f16_e32 v14, v15, v14
	v_add_f16_e32 v15, v30, v26
	v_add_f16_e32 v35, v31, v28
	v_lshrrev_b32_e32 v34, 16, v22
	v_sub_f16_e32 v36, v30, v26
	v_sub_f16_e32 v37, v31, v28
	;; [unrolled: 1-line block ×6, first 2 shown]
	v_add_f16_e32 v52, v33, v12
	v_add_f16_e32 v53, v14, v13
	v_sub_f16_e32 v54, v33, v12
	v_sub_f16_e32 v55, v14, v13
	v_add_f16_e32 v15, v23, v15
	v_add_f16_e32 v23, v32, v35
	v_sub_f16_e32 v12, v12, v29
	v_sub_f16_e32 v13, v13, v27
	;; [unrolled: 1-line block ×4, first 2 shown]
	v_add_f16_e32 v29, v52, v29
	v_add_f16_e32 v27, v53, v27
	;; [unrolled: 1-line block ×4, first 2 shown]
	v_mul_f16_e32 v26, 0x3a52, v26
	v_mul_f16_e32 v28, 0x3a52, v28
	;; [unrolled: 1-line block ×8, first 2 shown]
	v_fmamk_f16 v15, v15, 0xbcab, v22
	v_fmamk_f16 v23, v23, 0xbcab, v32
	;; [unrolled: 1-line block ×4, first 2 shown]
	v_fma_f16 v34, v36, 0x39e0, -v34
	v_fma_f16 v35, v37, 0x39e0, -v35
	v_fma_f16 v26, v36, 0xb9e0, -v26
	v_fma_f16 v28, v37, 0xb9e0, -v28
	v_fmamk_f16 v36, v33, 0xb574, v52
	v_fmamk_f16 v37, v14, 0xb574, v53
	v_fma_f16 v12, v12, 0xbb00, -v52
	v_fma_f16 v13, v13, 0xbb00, -v53
	;; [unrolled: 1-line block ×4, first 2 shown]
	v_add_f16_e32 v30, v30, v15
	v_add_f16_e32 v31, v31, v23
	v_fmac_f16_e32 v36, 0xb70e, v29
	v_fmac_f16_e32 v37, 0xb70e, v27
	v_add_f16_e32 v34, v34, v15
	v_add_f16_e32 v35, v35, v23
	;; [unrolled: 1-line block ×4, first 2 shown]
	v_fmac_f16_e32 v12, 0xb70e, v29
	v_fmac_f16_e32 v14, 0xb70e, v27
	;; [unrolled: 1-line block ×4, first 2 shown]
	v_add_f16_e32 v26, v37, v30
	v_sub_f16_e32 v27, v31, v36
	v_add_f16_e32 v28, v14, v15
	v_sub_f16_e32 v29, v23, v33
	v_sub_f16_e32 v52, v34, v13
	v_add_f16_e32 v53, v12, v35
	v_add_f16_e32 v13, v13, v34
	v_sub_f16_e32 v12, v35, v12
	v_sub_f16_e32 v14, v15, v14
	v_add_f16_e32 v15, v33, v23
	v_sub_f16_e32 v23, v30, v37
	v_add_f16_e32 v30, v36, v31
	v_pack_b32_f16 v22, v22, v32
	v_pack_b32_f16 v26, v26, v27
	;; [unrolled: 1-line block ×7, first 2 shown]
	global_wb scope:SCOPE_SE
	s_barrier_signal -1
	s_barrier_wait -1
	global_inv scope:SCOPE_SE
	ds_store_2addr_b32 v74, v22, v26 offset1:33
	ds_store_2addr_b32 v74, v27, v28 offset0:66 offset1:99
	ds_store_2addr_b32 v74, v12, v13 offset0:132 offset1:165
	ds_store_b32 v74, v14 offset:792
	s_and_saveexec_b32 s0, s1
	s_cbranch_execz .LBB0_29
; %bb.28:
	v_mul_f16_e32 v12, v72, v7
	v_mul_f16_e32 v14, v68, v4
	;; [unrolled: 1-line block ×5, first 2 shown]
	v_fmac_f16_e32 v12, v8, v5
	v_mul_f16_e32 v5, v72, v5
	v_mul_f16_e32 v23, v73, v97
	v_fmac_f16_e32 v14, v10, v1
	v_mul_f16_e32 v28, v73, v96
	v_mul_f16_e32 v1, v68, v1
	v_fma_f16 v5, v8, v7, -v5
	v_mul_f16_e32 v7, v69, v92
	v_fmac_f16_e32 v15, v9, v2
	v_mul_f16_e32 v31, v71, v94
	v_mul_f16_e32 v2, v70, v2
	v_fmac_f16_e32 v13, v11, v92
	v_fmac_f16_e32 v22, v24, v94
	;; [unrolled: 1-line block ×3, first 2 shown]
	v_fma_f16 v25, v25, v97, -v28
	v_fma_f16 v1, v10, v4, -v1
	;; [unrolled: 1-line block ×5, first 2 shown]
	v_sub_f16_e32 v26, v13, v14
	v_sub_f16_e32 v27, v15, v22
	;; [unrolled: 1-line block ×3, first 2 shown]
	v_add_f16_e32 v9, v25, v5
	v_add_f16_e32 v11, v1, v4
	v_add_f16_e32 v7, v8, v2
	v_add_f16_e32 v12, v23, v12
	v_add_f16_e32 v15, v22, v15
	v_sub_f16_e32 v30, v26, v27
	v_sub_f16_e32 v28, v29, v26
	v_add_f16_e32 v6, v26, v27
	v_sub_f16_e32 v26, v9, v11
	v_add_f16_e32 v13, v14, v13
	v_add_f16_e32 v24, v7, v9
	;; [unrolled: 1-line block ×3, first 2 shown]
	v_sub_f16_e32 v1, v4, v1
	v_sub_f16_e32 v2, v2, v8
	v_mul_f16_e32 v22, 0x3a52, v26
	v_sub_f16_e32 v26, v12, v13
	v_sub_f16_e32 v5, v5, v25
	v_add_f16_e32 v24, v11, v24
	v_add_f16_e32 v14, v13, v14
	v_sub_f16_e32 v8, v13, v15
	v_sub_f16_e32 v13, v1, v2
	;; [unrolled: 1-line block ×4, first 2 shown]
	v_mul_f16_e32 v4, 0x3a52, v26
	v_sub_f16_e32 v26, v5, v1
	v_add_f16_e32 v1, v1, v2
	v_sub_f16_e32 v2, v2, v5
	v_mul_f16_e32 v30, 0x3846, v30
	v_add_f16_e32 v3, v3, v24
	v_add_f16_e32 v0, v0, v14
	v_mul_f16_e32 v13, 0x3846, v13
	v_mul_f16_e32 v32, 0xbb00, v27
	v_sub_f16_e32 v7, v7, v9
	v_mul_f16_e32 v23, 0x2b26, v11
	v_fmamk_f16 v25, v8, 0x2b26, v4
	v_mul_f16_e32 v8, 0x2b26, v8
	v_sub_f16_e32 v9, v15, v12
	v_mul_f16_e32 v15, 0xbb00, v2
	v_fmamk_f16 v10, v28, 0xb574, v30
	v_add_f16_e32 v6, v6, v29
	v_fmamk_f16 v11, v11, 0x2b26, v22
	v_fmamk_f16 v24, v24, 0xbcab, v3
	;; [unrolled: 1-line block ×4, first 2 shown]
	v_add_f16_e32 v1, v1, v5
	v_fma_f16 v5, v28, 0x3574, -v32
	v_fma_f16 v12, v7, 0xb9e0, -v22
	;; [unrolled: 1-line block ×8, first 2 shown]
	v_fmac_f16_e32 v10, 0xb70e, v6
	v_add_f16_e32 v11, v11, v24
	v_add_f16_e32 v25, v25, v14
	v_fmac_f16_e32 v29, 0xb70e, v1
	v_fmac_f16_e32 v5, 0xb70e, v6
	v_add_f16_e32 v12, v12, v24
	v_add_f16_e32 v4, v4, v14
	v_fmac_f16_e32 v15, 0xb70e, v1
	v_add_f16_e32 v7, v7, v24
	v_fmac_f16_e32 v22, 0xb70e, v6
	v_fmac_f16_e32 v2, 0xb70e, v1
	v_add_f16_e32 v1, v8, v14
	v_add_f16_e32 v31, v10, v11
	;; [unrolled: 1-line block ×3, first 2 shown]
	v_sub_f16_e32 v5, v12, v5
	v_sub_f16_e32 v10, v11, v10
	v_add_f16_e32 v11, v29, v25
	v_lshlrev_b32_e32 v12, 2, v67
	v_sub_f16_e32 v9, v4, v15
	v_sub_f16_e32 v13, v7, v22
	v_add_f16_e32 v14, v2, v1
	v_add_f16_e32 v7, v22, v7
	;; [unrolled: 1-line block ×3, first 2 shown]
	v_sub_f16_e32 v1, v1, v2
	v_sub_f16_e32 v6, v25, v29
	v_pack_b32_f16 v0, v0, v3
	v_pack_b32_f16 v2, v11, v10
	v_add_nc_u32_e32 v3, 0x1800, v12
	v_pack_b32_f16 v4, v4, v5
	v_pack_b32_f16 v1, v1, v7
	;; [unrolled: 1-line block ×5, first 2 shown]
	ds_store_2addr_b32 v3, v0, v2 offset0:81 offset1:114
	ds_store_2addr_b32 v3, v4, v1 offset0:147 offset1:180
	ds_store_2addr_b32 v3, v5, v7 offset0:213 offset1:246
	ds_store_b32 v12, v6 offset:7260
.LBB0_29:
	s_wait_alu 0xfffe
	s_or_b32 exec_lo, exec_lo, s0
	v_add_nc_u32_e32 v8, 0x700, v38
	v_add_nc_u32_e32 v9, 0xe40, v38
	;; [unrolled: 1-line block ×3, first 2 shown]
	global_wb scope:SCOPE_SE
	s_wait_dscnt 0x0
	s_barrier_signal -1
	s_barrier_wait -1
	global_inv scope:SCOPE_SE
	ds_load_2addr_b32 v[0:1], v38 offset1:231
	ds_load_2addr_b32 v[2:3], v8 offset0:14 offset1:245
	ds_load_2addr_b32 v[4:5], v9 offset0:12 offset1:243
	;; [unrolled: 1-line block ×3, first 2 shown]
	global_wb scope:SCOPE_SE
	s_wait_dscnt 0x0
	s_barrier_signal -1
	s_barrier_wait -1
	global_inv scope:SCOPE_SE
	s_mov_b32 s10, 0x4046ed29
	s_mov_b32 s11, 0x3f41bb4a
	v_lshrrev_b32_e32 v11, 16, v0
	v_lshrrev_b32_e32 v13, 16, v2
	;; [unrolled: 1-line block ×4, first 2 shown]
	v_mul_f16_e32 v25, v84, v2
	v_mul_f16_e32 v26, v82, v4
	v_lshrrev_b32_e32 v22, 16, v3
	v_lshrrev_b32_e32 v23, 16, v5
	;; [unrolled: 1-line block ×3, first 2 shown]
	v_mul_f16_e32 v27, v83, v6
	v_mul_f16_e32 v31, v84, v13
	v_fma_f16 v13, v16, v13, -v25
	v_mul_f16_e32 v25, v82, v14
	v_fma_f16 v14, v17, v14, -v26
	v_mul_f16_e32 v26, v83, v15
	v_mul_f16_e32 v28, v84, v3
	;; [unrolled: 1-line block ×4, first 2 shown]
	v_fma_f16 v15, v18, v15, -v27
	v_mul_f16_e32 v27, v84, v22
	v_fmac_f16_e32 v31, v16, v2
	v_fmac_f16_e32 v26, v18, v6
	v_mul_f16_e32 v2, v82, v23
	v_mul_f16_e32 v6, v83, v24
	v_fmac_f16_e32 v25, v17, v4
	v_lshrrev_b32_e32 v12, 16, v1
	v_fma_f16 v22, v16, v22, -v28
	v_fma_f16 v4, v17, v23, -v29
	;; [unrolled: 1-line block ×3, first 2 shown]
	v_fmac_f16_e32 v27, v16, v3
	v_fmac_f16_e32 v2, v17, v5
	v_fmac_f16_e32 v6, v18, v7
	v_sub_f16_e32 v23, v0, v25
	v_sub_f16_e32 v25, v31, v26
	;; [unrolled: 1-line block ×8, first 2 shown]
	v_fma_f16 v0, v0, 2.0, -v23
	v_fma_f16 v26, v31, 2.0, -v25
	;; [unrolled: 1-line block ×4, first 2 shown]
	v_add_f16_e32 v13, v23, v15
	v_fma_f16 v1, v1, 2.0, -v2
	v_fma_f16 v12, v12, 2.0, -v4
	;; [unrolled: 1-line block ×4, first 2 shown]
	v_sub_f16_e32 v11, v0, v26
	v_sub_f16_e32 v5, v3, v5
	;; [unrolled: 1-line block ×5, first 2 shown]
	v_add_f16_e32 v7, v2, v7
	v_sub_f16_e32 v6, v4, v6
	v_fma_f16 v0, v0, 2.0, -v11
	v_fma_f16 v3, v3, 2.0, -v5
	;; [unrolled: 1-line block ×8, first 2 shown]
	v_pack_b32_f16 v0, v0, v3
	v_pack_b32_f16 v3, v18, v14
	;; [unrolled: 1-line block ×8, first 2 shown]
	ds_store_2addr_b32 v38, v0, v3 offset1:231
	ds_store_2addr_b32 v8, v5, v11 offset0:14 offset1:245
	ds_store_2addr_b32 v9, v1, v2 offset0:12 offset1:243
	;; [unrolled: 1-line block ×3, first 2 shown]
	global_wb scope:SCOPE_SE
	s_wait_dscnt 0x0
	s_barrier_signal -1
	s_barrier_wait -1
	global_inv scope:SCOPE_SE
	ds_load_2addr_b32 v[0:1], v9 offset0:12 offset1:243
	ds_load_2addr_b32 v[2:3], v38 offset1:231
	ds_load_2addr_b32 v[4:5], v8 offset0:14 offset1:245
	ds_load_2addr_b32 v[6:7], v10 offset0:10 offset1:241
	s_wait_dscnt 0x3
	v_lshrrev_b32_e32 v9, 16, v0
	v_lshrrev_b32_e32 v12, 16, v1
	v_mul_f16_e32 v18, v91, v0
	s_wait_dscnt 0x0
	v_lshrrev_b32_e32 v15, 16, v6
	v_lshrrev_b32_e32 v17, 16, v7
	v_mul_f16_e32 v14, v91, v9
	v_mul_f16_e32 v22, v90, v1
	v_fma_f16 v9, v75, v9, -v18
	v_mul_f16_e32 v23, v89, v15
	v_mul_f16_e32 v18, v89, v6
	v_fmac_f16_e32 v14, v75, v0
	v_mul_f16_e32 v0, v90, v12
	v_lshrrev_b32_e32 v10, 16, v2
	v_fmac_f16_e32 v23, v78, v6
	v_mul_f16_e32 v6, v87, v17
	v_lshrrev_b32_e32 v11, 16, v3
	v_fmac_f16_e32 v0, v77, v1
	v_fma_f16 v1, v77, v12, -v22
	v_fma_f16 v12, v78, v15, -v18
	v_mul_f16_e32 v15, v87, v7
	v_lshrrev_b32_e32 v13, 16, v4
	v_lshrrev_b32_e32 v16, 16, v5
	v_fmac_f16_e32 v6, v76, v7
	v_sub_f16_e32 v14, v2, v14
	v_fma_f16 v7, v76, v17, -v15
	v_sub_f16_e32 v9, v10, v9
	v_sub_f16_e32 v0, v3, v0
	;; [unrolled: 1-line block ×7, first 2 shown]
	v_fma_f16 v2, v2, 2.0, -v14
	v_fma_f16 v10, v10, 2.0, -v9
	;; [unrolled: 1-line block ×8, first 2 shown]
	v_pack_b32_f16 v9, v14, v9
	v_pack_b32_f16 v2, v2, v10
	;; [unrolled: 1-line block ×6, first 2 shown]
	v_add_nc_u32_e32 v10, 0x1200, v38
	v_pack_b32_f16 v5, v5, v16
	v_pack_b32_f16 v6, v6, v7
	ds_store_b32 v38, v9 offset:3696
	ds_store_2addr_b32 v38, v2, v3 offset1:231
	ds_store_2addr_b32 v10, v0, v4 offset0:3 offset1:234
	ds_store_2addr_b32 v8, v1, v5 offset0:14 offset1:245
	ds_store_b32 v38, v6 offset:6468
	v_add_nc_u32_e32 v0, 0x980, v38
	global_wb scope:SCOPE_SE
	s_wait_dscnt 0x0
	s_barrier_signal -1
	s_barrier_wait -1
	global_inv scope:SCOPE_SE
	ds_load_2addr_b32 v[4:5], v38 offset1:231
	ds_load_2addr_b32 v[2:3], v0 offset0:8 offset1:239
	v_mad_co_u64_u32 v[22:23], null, s4, v45, 0
	v_mad_co_u64_u32 v[16:17], null, s6, v21, 0
	s_wait_dscnt 0x1
	v_lshrrev_b32_e32 v0, 16, v4
	v_mul_f16_e32 v1, v51, v4
	s_wait_dscnt 0x0
	v_lshrrev_b32_e32 v8, 16, v2
	v_mul_f16_e32 v6, v50, v2
	v_mul_f16_e32 v7, v51, v0
	v_fma_f16 v0, v47, v0, -v1
	v_add_nc_u32_e32 v1, 0x1300, v38
	s_delay_alu instid0(VALU_DEP_4) | instskip(NEXT) | instid1(VALU_DEP_4)
	v_fma_f16 v6, v49, v8, -v6
	v_fmac_f16_e32 v7, v47, v4
	s_delay_alu instid0(VALU_DEP_4) | instskip(NEXT) | instid1(VALU_DEP_3)
	v_cvt_f32_f16_e32 v4, v0
	v_cvt_f32_f16_e32 v9, v6
	s_delay_alu instid0(VALU_DEP_3) | instskip(NEXT) | instid1(VALU_DEP_3)
	v_cvt_f32_f16_e32 v10, v7
	v_cvt_f64_f32_e32 v[6:7], v4
	v_mul_f16_e32 v4, v50, v8
	s_delay_alu instid0(VALU_DEP_4) | instskip(NEXT) | instid1(VALU_DEP_4)
	v_cvt_f64_f32_e32 v[8:9], v9
	v_cvt_f64_f32_e32 v[10:11], v10
	s_delay_alu instid0(VALU_DEP_3) | instskip(NEXT) | instid1(VALU_DEP_1)
	v_fmac_f16_e32 v4, v49, v2
	v_cvt_f32_f16_e32 v2, v4
	v_mov_b32_e32 v4, v23
	ds_load_2addr_b32 v[0:1], v1 offset0:16 offset1:247
	v_cvt_f64_f32_e32 v[12:13], v2
	v_mad_co_u64_u32 v[23:24], null, s5, v45, v[4:5]
	s_wait_dscnt 0x0
	v_lshrrev_b32_e32 v25, 16, v0
	s_wait_alu 0xfffe
	v_mul_f64_e32 v[6:7], s[10:11], v[6:7]
	s_delay_alu instid0(VALU_DEP_2) | instskip(SKIP_2) | instid1(VALU_DEP_3)
	v_mul_f16_e32 v2, v48, v25
	v_mul_f64_e32 v[8:9], s[10:11], v[8:9]
	v_mul_f64_e32 v[10:11], s[10:11], v[10:11]
	v_fmac_f16_e32 v2, v46, v0
	v_mul_f16_e32 v0, v48, v0
	s_delay_alu instid0(VALU_DEP_2) | instskip(NEXT) | instid1(VALU_DEP_2)
	v_cvt_f32_f16_e32 v2, v2
	v_fma_f16 v0, v46, v25, -v0
	v_mul_f64_e32 v[12:13], s[10:11], v[12:13]
	s_delay_alu instid0(VALU_DEP_3) | instskip(SKIP_1) | instid1(VALU_DEP_4)
	v_cvt_f64_f32_e32 v[14:15], v2
	v_mov_b32_e32 v2, v17
	v_cvt_f32_f16_e32 v0, v0
	s_delay_alu instid0(VALU_DEP_2) | instskip(SKIP_1) | instid1(VALU_DEP_3)
	v_mad_co_u64_u32 v[17:18], null, s7, v21, v[2:3]
	v_lshlrev_b64_e32 v[21:22], 2, v[22:23]
	v_cvt_f64_f32_e32 v[23:24], v0
	s_delay_alu instid0(VALU_DEP_3)
	v_lshlrev_b64_e32 v[16:17], 2, v[16:17]
	v_and_or_b32 v0, 0x1ff, v7, v6
	v_lshrrev_b32_e32 v2, 8, v7
	v_bfe_u32 v4, v7, 20, 11
	v_lshrrev_b32_e32 v6, 16, v7
	v_and_or_b32 v10, 0x1ff, v11, v10
	v_cmp_ne_u32_e64 s0, 0, v0
	v_lshrrev_b32_e32 v25, 8, v11
	v_bfe_u32 v26, v11, 20, 11
	v_and_or_b32 v7, 0x1ff, v9, v8
	v_sub_nc_u32_e32 v27, 0x3f1, v4
	s_wait_alu 0xf1ff
	v_cndmask_b32_e64 v0, 0, 1, s0
	v_cmp_ne_u32_e64 s0, 0, v10
	v_sub_nc_u32_e32 v30, 0x3f1, v26
	v_lshrrev_b32_e32 v8, 8, v9
	v_med3_i32 v27, v27, 0, 13
	v_and_or_b32 v0, 0xffe, v2, v0
	s_wait_alu 0xf1ff
	v_cndmask_b32_e64 v10, 0, 1, s0
	v_med3_i32 v2, v30, 0, 13
	v_and_or_b32 v12, 0x1ff, v13, v12
	v_cmp_ne_u32_e64 s0, 0, v7
	v_or_b32_e32 v31, 0x1000, v0
	v_and_or_b32 v10, 0xffe, v25, v10
	v_add_nc_u32_e32 v4, 0xfffffc10, v4
	v_add_nc_u32_e32 v26, 0xfffffc10, v26
	s_wait_alu 0xf1ff
	v_cndmask_b32_e64 v7, 0, 1, s0
	v_cmp_ne_u32_e64 s0, 0, v12
	v_or_b32_e32 v25, 0x1000, v10
	v_lshrrev_b32_e32 v34, v27, v31
	v_lshrrev_b32_e32 v28, 8, v13
	v_and_or_b32 v8, 0xffe, v8, v7
	s_wait_alu 0xf1ff
	v_cndmask_b32_e64 v12, 0, 1, s0
	v_lshrrev_b32_e32 v32, v2, v25
	v_lshlrev_b32_e32 v27, v27, v34
	v_lshl_or_b32 v7, v4, 12, v0
	v_bfe_u32 v29, v13, 20, 11
	v_and_or_b32 v12, 0xffe, v28, v12
	v_lshlrev_b32_e32 v2, v2, v32
	v_bfe_u32 v18, v9, 20, 11
	v_lshrrev_b32_e32 v11, 16, v11
	v_sub_nc_u32_e32 v33, 0x3f1, v29
	v_mul_f64_e32 v[14:15], s[10:11], v[14:15]
	v_cmp_ne_u32_e64 s0, v2, v25
	v_sub_nc_u32_e32 v30, 0x3f1, v18
	v_add_nc_u32_e32 v29, 0xfffffc10, v29
	v_med3_i32 v28, v33, 0, 13
	v_lshrrev_b32_e32 v13, 16, v13
	s_wait_alu 0xf1ff
	v_cndmask_b32_e64 v2, 0, 1, s0
	v_cmp_ne_u32_e64 s0, 0, v0
	v_med3_i32 v30, v30, 0, 13
	s_delay_alu instid0(VALU_DEP_3) | instskip(SKIP_1) | instid1(VALU_DEP_3)
	v_or_b32_e32 v2, v32, v2
	s_wait_alu 0xf1ff
	v_cndmask_b32_e64 v0, 0, 1, s0
	v_cmp_ne_u32_e64 s0, v27, v31
	v_lshl_or_b32 v27, v26, 12, v10
	s_delay_alu instid0(VALU_DEP_3) | instskip(SKIP_1) | instid1(VALU_DEP_3)
	v_lshl_or_b32 v0, v0, 9, 0x7c00
	s_wait_alu 0xf1ff
	v_cndmask_b32_e64 v25, 0, 1, s0
	v_cmp_gt_i32_e64 s0, 1, v26
	s_delay_alu instid0(VALU_DEP_2) | instskip(SKIP_1) | instid1(VALU_DEP_2)
	v_or_b32_e32 v25, v34, v25
	s_wait_alu 0xf1ff
	v_cndmask_b32_e64 v2, v27, v2, s0
	v_cmp_ne_u32_e64 s0, 0, v10
	s_delay_alu instid0(VALU_DEP_2) | instskip(SKIP_1) | instid1(VALU_DEP_2)
	v_and_b32_e32 v27, 7, v2
	s_wait_alu 0xf1ff
	v_cndmask_b32_e64 v10, 0, 1, s0
	v_cmp_gt_i32_e64 s0, 1, v4
	v_lshrrev_b32_e32 v2, 2, v2
	v_cmp_eq_u32_e64 s1, 3, v27
	s_delay_alu instid0(VALU_DEP_4)
	v_lshl_or_b32 v10, v10, 9, 0x7c00
	s_wait_alu 0xf1ff
	v_cndmask_b32_e64 v7, v7, v25, s0
	v_cmp_lt_i32_e64 s0, 5, v27
	v_or_b32_e32 v25, 0x1000, v12
	v_and_or_b32 v14, 0x1ff, v15, v14
	s_delay_alu instid0(VALU_DEP_4)
	v_and_b32_e32 v31, 7, v7
	v_lshrrev_b32_e32 v7, 2, v7
	s_or_b32 s0, s1, s0
	v_lshrrev_b32_e32 v32, v28, v25
	s_wait_alu 0xfffe
	v_add_co_ci_u32_e64 v2, s0, 0, v2, s0
	v_cmp_lt_i32_e64 s2, 5, v31
	v_cmp_eq_u32_e64 s3, 3, v31
	v_lshlrev_b32_e32 v27, v28, v32
	s_delay_alu instid0(VALU_DEP_2) | instskip(SKIP_4) | instid1(VALU_DEP_1)
	s_or_b32 s0, s3, s2
	s_wait_alu 0xfffe
	v_add_co_ci_u32_e64 v7, s0, 0, v7, s0
	v_cmp_gt_i32_e64 s0, 31, v26
	s_wait_alu 0xf1ff
	v_cndmask_b32_e64 v2, 0x7c00, v2, s0
	v_cmp_gt_i32_e64 s0, 31, v4
	s_wait_alu 0xf1ff
	s_delay_alu instid0(VALU_DEP_1) | instskip(SKIP_2) | instid1(VALU_DEP_1)
	v_cndmask_b32_e64 v7, 0x7c00, v7, s0
	v_cmp_eq_u32_e64 s0, 0x40f, v26
	s_wait_alu 0xf1ff
	v_cndmask_b32_e64 v2, v2, v10, s0
	v_cmp_ne_u32_e64 s0, v27, v25
	s_delay_alu instid0(VALU_DEP_2) | instskip(SKIP_1) | instid1(VALU_DEP_2)
	v_and_or_b32 v2, 0x8000, v11, v2
	s_wait_alu 0xf1ff
	v_cndmask_b32_e64 v10, 0, 1, s0
	v_cmp_eq_u32_e64 s0, 0x40f, v4
	v_or_b32_e32 v4, 0x1000, v8
	v_and_b32_e32 v2, 0xffff, v2
	s_delay_alu instid0(VALU_DEP_4) | instskip(SKIP_3) | instid1(VALU_DEP_2)
	v_or_b32_e32 v10, v32, v10
	s_wait_alu 0xf1ff
	v_cndmask_b32_e64 v0, v7, v0, s0
	v_lshl_or_b32 v7, v29, 12, v12
	v_and_or_b32 v0, 0x8000, v6, v0
	v_add_co_u32 v6, s0, s8, v16
	s_wait_alu 0xf1ff
	v_add_co_ci_u32_e64 v11, s0, s9, v17, s0
	v_cmp_gt_i32_e64 s0, 1, v29
	v_lshrrev_b32_e32 v16, v30, v4
	v_lshl_or_b32 v0, v0, 16, v2
	s_wait_alu 0xf1ff
	s_delay_alu instid0(VALU_DEP_3) | instskip(SKIP_3) | instid1(VALU_DEP_3)
	v_cndmask_b32_e64 v10, v7, v10, s0
	v_add_co_u32 v6, s0, v6, v21
	s_wait_alu 0xf1ff
	v_add_co_ci_u32_e64 v7, s0, v11, v22, s0
	v_and_b32_e32 v2, 7, v10
	v_lshlrev_b32_e32 v11, v30, v16
	v_lshrrev_b32_e32 v22, 8, v15
	global_store_b32 v[6:7], v0, off
	v_lshrrev_b32_e32 v0, 2, v10
	v_cmp_lt_i32_e64 s0, 5, v2
	v_cmp_eq_u32_e64 s1, 3, v2
	v_cmp_ne_u32_e64 s2, v11, v4
	v_add_nc_u32_e32 v4, 0xfffffc10, v18
	v_lshrrev_b32_e32 v18, 16, v5
	s_delay_alu instid0(VALU_DEP_4) | instskip(NEXT) | instid1(VALU_DEP_3)
	s_or_b32 s0, s1, s0
	v_cndmask_b32_e64 v2, 0, 1, s2
	s_wait_alu 0xfffe
	v_add_co_ci_u32_e64 v0, s0, 0, v0, s0
	v_cmp_gt_i32_e64 s0, 31, v29
	v_lshl_or_b32 v10, v4, 12, v8
	v_or_b32_e32 v2, v16, v2
	v_mul_f16_e32 v16, v44, v18
	v_cmp_eq_u32_e64 s2, 0x40f, v29
	s_wait_alu 0xf1ff
	v_cndmask_b32_e64 v0, 0x7c00, v0, s0
	v_cmp_gt_i32_e64 s0, 1, v4
	v_fmac_f16_e32 v16, v43, v5
	v_mul_f16_e32 v5, v44, v5
	s_wait_alu 0xf1ff
	s_delay_alu instid0(VALU_DEP_3)
	v_cndmask_b32_e64 v2, v10, v2, s0
	v_mul_f64_e32 v[10:11], s[10:11], v[23:24]
	v_cmp_ne_u32_e64 s0, 0, v12
	v_cvt_f32_f16_e32 v16, v16
	v_bfe_u32 v23, v15, 20, 11
	v_and_b32_e32 v21, 7, v2
	v_lshrrev_b32_e32 v2, 2, v2
	s_wait_alu 0xf1ff
	v_cndmask_b32_e64 v12, 0, 1, s0
	v_cmp_ne_u32_e64 s0, 0, v14
	v_cvt_f64_f32_e32 v[16:17], v16
	v_cmp_eq_u32_e64 s1, 3, v21
	v_fma_f16 v5, v43, v18, -v5
	v_lshl_or_b32 v12, v12, 9, 0x7c00
	s_wait_alu 0xf1ff
	v_cndmask_b32_e64 v14, 0, 1, s0
	v_cmp_lt_i32_e64 s0, 5, v21
	v_sub_nc_u32_e32 v21, 0x3f1, v23
	v_cndmask_b32_e64 v0, v0, v12, s2
	s_delay_alu instid0(VALU_DEP_4) | instskip(NEXT) | instid1(VALU_DEP_4)
	v_and_or_b32 v14, 0xffe, v22, v14
	s_or_b32 s0, s1, s0
	s_delay_alu instid0(VALU_DEP_3)
	v_med3_i32 v21, v21, 0, 13
	s_wait_alu 0xfffe
	v_add_co_ci_u32_e64 v2, s0, 0, v2, s0
	v_or_b32_e32 v12, 0x1000, v14
	v_cmp_ne_u32_e64 s0, 0, v8
	v_and_or_b32 v0, 0x8000, v13, v0
	s_delay_alu instid0(VALU_DEP_3) | instskip(SKIP_1) | instid1(VALU_DEP_3)
	v_lshrrev_b32_e32 v22, v21, v12
	s_wait_alu 0xf1ff
	v_cndmask_b32_e64 v8, 0, 1, s0
	v_cmp_gt_i32_e64 s0, 31, v4
	v_and_b32_e32 v0, 0xffff, v0
	v_lshlrev_b32_e32 v21, v21, v22
	s_delay_alu instid0(VALU_DEP_4) | instskip(SKIP_4) | instid1(VALU_DEP_1)
	v_lshl_or_b32 v8, v8, 9, 0x7c00
	s_wait_alu 0xf1ff
	v_cndmask_b32_e64 v2, 0x7c00, v2, s0
	v_cmp_eq_u32_e64 s0, 0x40f, v4
	s_wait_alu 0xf1ff
	v_cndmask_b32_e64 v2, v2, v8, s0
	v_cmp_ne_u32_e64 s0, v21, v12
	v_and_or_b32 v8, 0x1ff, v11, v10
	v_lshrrev_b32_e32 v10, 16, v9
	v_cvt_f32_f16_e32 v9, v5
	v_add_nc_u32_e32 v21, 0xfffffc10, v23
	s_wait_alu 0xf1ff
	v_cndmask_b32_e64 v4, 0, 1, s0
	v_cmp_ne_u32_e64 s0, 0, v8
	v_and_or_b32 v2, 0x8000, v10, v2
	v_cvt_f64_f32_e32 v[8:9], v9
	v_lshl_or_b32 v13, v21, 12, v14
	v_or_b32_e32 v12, v22, v4
	v_mul_f64_e32 v[4:5], s[10:11], v[16:17]
	s_wait_alu 0xf1ff
	v_cndmask_b32_e64 v18, 0, 1, s0
	v_lshrrev_b32_e32 v22, 8, v11
	v_bfe_u32 v16, v11, 20, 11
	v_cmp_gt_i32_e64 s0, 1, v21
	v_lshrrev_b32_e32 v11, 16, v11
	s_delay_alu instid0(VALU_DEP_4)
	v_and_or_b32 v17, 0xffe, v22, v18
	v_lshl_or_b32 v22, v2, 16, v0
	s_wait_alu 0xf1ff
	v_cndmask_b32_e64 v10, v13, v12, s0
	v_sub_nc_u32_e32 v12, 0x3f1, v16
	s_mul_u64 s[0:1], s[4:5], 0x268
	v_or_b32_e32 v18, 0x1000, v17
	s_wait_alu 0xfffe
	s_lshl_b64 s[12:13], s[0:1], 2
	v_and_b32_e32 v13, 7, v10
	v_med3_i32 v12, v12, 0, 13
	v_lshrrev_b32_e32 v10, 2, v10
	v_lshrrev_b32_e32 v2, 16, v3
	v_add_nc_u32_e32 v16, 0xfffffc10, v16
	v_cmp_lt_i32_e64 s0, 5, v13
	v_lshrrev_b32_e32 v0, v12, v18
	v_cmp_eq_u32_e64 s1, 3, v13
	v_mul_f16_e32 v13, v42, v2
	s_wait_alu 0xfffe
	v_add_co_u32 v6, s2, v6, s12
	v_lshlrev_b32_e32 v12, v12, v0
	s_or_b32 s0, s1, s0
	v_fmac_f16_e32 v13, v41, v3
	s_wait_alu 0xfffe
	v_add_co_ci_u32_e64 v10, s0, 0, v10, s0
	v_cmp_ne_u32_e64 s0, v12, v18
	v_add_co_ci_u32_e64 v7, s2, s13, v7, s2
	v_cvt_f32_f16_e32 v13, v13
	v_cmp_eq_u32_e64 s2, 0x40f, v21
	s_wait_alu 0xf1ff
	v_cndmask_b32_e64 v12, 0, 1, s0
	v_cmp_ne_u32_e64 s0, 0, v14
	v_mul_f64_e32 v[8:9], s[10:11], v[8:9]
	v_and_or_b32 v4, 0x1ff, v5, v4
	v_lshrrev_b32_e32 v18, 8, v5
	v_or_b32_e32 v0, v0, v12
	s_wait_alu 0xf1ff
	v_cndmask_b32_e64 v14, 0, 1, s0
	v_lshl_or_b32 v12, v16, 12, v17
	v_cmp_gt_i32_e64 s0, 1, v16
	v_bfe_u32 v23, v5, 20, 11
	v_mul_f16_e32 v3, v42, v3
	v_lshl_or_b32 v14, v14, 9, 0x7c00
	s_wait_alu 0xf1ff
	v_cndmask_b32_e64 v0, v12, v0, s0
	v_cmp_ne_u32_e64 s0, 0, v4
	v_cvt_f64_f32_e32 v[12:13], v13
	v_fma_f16 v2, v41, v2, -v3
	s_delay_alu instid0(VALU_DEP_4)
	v_and_b32_e32 v24, 7, v0
	s_wait_alu 0xf1ff
	v_cndmask_b32_e64 v4, 0, 1, s0
	v_cmp_gt_i32_e64 s0, 31, v21
	v_lshrrev_b32_e32 v0, 2, v0
	v_cvt_f32_f16_e32 v2, v2
	v_cmp_eq_u32_e64 s1, 3, v24
	v_and_or_b32 v4, 0xffe, v18, v4
	v_sub_nc_u32_e32 v18, 0x3f1, v23
	s_wait_alu 0xf1ff
	v_cndmask_b32_e64 v10, 0x7c00, v10, s0
	v_cmp_lt_i32_e64 s0, 5, v24
	v_or_b32_e32 v24, 0x1000, v4
	v_med3_i32 v18, v18, 0, 13
	s_delay_alu instid0(VALU_DEP_4) | instskip(NEXT) | instid1(VALU_DEP_4)
	v_cndmask_b32_e64 v10, v10, v14, s2
	s_or_b32 s0, s1, s0
	v_lshrrev_b32_e32 v14, 16, v15
	s_wait_alu 0xfffe
	v_add_co_ci_u32_e64 v0, s0, 0, v0, s0
	v_lshrrev_b32_e32 v15, v18, v24
	v_cmp_ne_u32_e64 s0, 0, v17
	v_and_or_b32 v10, 0x8000, v14, v10
	v_and_or_b32 v8, 0x1ff, v9, v8
	s_delay_alu instid0(VALU_DEP_4) | instskip(SKIP_4) | instid1(VALU_DEP_3)
	v_lshlrev_b32_e32 v18, v18, v15
	s_wait_alu 0xf1ff
	v_cndmask_b32_e64 v17, 0, 1, s0
	v_cmp_gt_i32_e64 s0, 31, v16
	v_and_b32_e32 v10, 0xffff, v10
	v_lshl_or_b32 v14, v17, 9, 0x7c00
	s_wait_alu 0xf1ff
	s_delay_alu instid0(VALU_DEP_3)
	v_cndmask_b32_e64 v0, 0x7c00, v0, s0
	v_cmp_ne_u32_e64 s0, v18, v24
	v_add_nc_u32_e32 v18, 0xfffffc10, v23
	v_lshrrev_b32_e32 v23, 16, v1
	v_mul_f64_e32 v[12:13], s[10:11], v[12:13]
	s_wait_alu 0xf1ff
	v_cndmask_b32_e64 v17, 0, 1, s0
	v_cmp_eq_u32_e64 s0, 0x40f, v16
	v_lshrrev_b32_e32 v16, 8, v9
	v_cmp_eq_u32_e64 s2, 0x40f, v18
	s_wait_alu 0xf1ff
	s_delay_alu instid0(VALU_DEP_3)
	v_cndmask_b32_e64 v0, v0, v14, s0
	v_cmp_ne_u32_e64 s0, 0, v8
	v_or_b32_e32 v14, v15, v17
	v_bfe_u32 v17, v9, 20, 11
	v_lshl_or_b32 v15, v18, 12, v4
	v_and_or_b32 v0, 0x8000, v11, v0
	s_wait_alu 0xf1ff
	v_cndmask_b32_e64 v8, 0, 1, s0
	v_cmp_gt_i32_e64 s0, 1, v18
	v_sub_nc_u32_e32 v3, 0x3f1, v17
	s_delay_alu instid0(VALU_DEP_3) | instskip(SKIP_1) | instid1(VALU_DEP_3)
	v_and_or_b32 v8, 0xffe, v16, v8
	s_wait_alu 0xf1ff
	v_cndmask_b32_e64 v14, v15, v14, s0
	s_delay_alu instid0(VALU_DEP_3) | instskip(SKIP_2) | instid1(VALU_DEP_4)
	v_med3_i32 v21, v3, 0, 13
	v_cvt_f64_f32_e32 v[2:3], v2
	v_or_b32_e32 v16, 0x1000, v8
	v_and_b32_e32 v15, 7, v14
	s_delay_alu instid0(VALU_DEP_2) | instskip(NEXT) | instid1(VALU_DEP_2)
	v_lshrrev_b32_e32 v11, v21, v16
	v_cmp_lt_i32_e64 s0, 5, v15
	v_cmp_eq_u32_e64 s1, 3, v15
	v_lshl_or_b32 v15, v0, 16, v10
	v_lshrrev_b32_e32 v0, 2, v14
	v_lshlrev_b32_e32 v10, v21, v11
	v_mul_f16_e32 v14, v40, v23
	s_or_b32 s0, s1, s0
	s_wait_alu 0xfffe
	v_add_co_ci_u32_e64 v0, s0, 0, v0, s0
	v_cmp_ne_u32_e64 s0, v10, v16
	v_fmac_f16_e32 v14, v39, v1
	v_add_nc_u32_e32 v16, 0xfffffc10, v17
	v_and_or_b32 v12, 0x1ff, v13, v12
	v_mul_f16_e32 v1, v40, v1
	s_wait_alu 0xf1ff
	v_cndmask_b32_e64 v10, 0, 1, s0
	v_cmp_gt_i32_e64 s0, 31, v18
	v_bfe_u32 v21, v13, 20, 11
	v_fma_f16 v23, v39, v23, -v1
	s_wait_alu 0xf1ff
	s_delay_alu instid0(VALU_DEP_3)
	v_cndmask_b32_e64 v17, 0x7c00, v0, s0
	v_cmp_ne_u32_e64 s0, 0, v4
	v_or_b32_e32 v0, v11, v10
	v_cvt_f32_f16_e32 v10, v14
	v_lshl_or_b32 v14, v16, 12, v8
	v_sub_nc_u32_e32 v25, 0x3f1, v21
	s_wait_alu 0xf1ff
	v_cndmask_b32_e64 v4, 0, 1, s0
	v_cmp_gt_i32_e64 s0, 1, v16
	v_cvt_f64_f32_e32 v[10:11], v10
	s_delay_alu instid0(VALU_DEP_3) | instskip(SKIP_1) | instid1(VALU_DEP_3)
	v_lshl_or_b32 v4, v4, 9, 0x7c00
	s_wait_alu 0xf1ff
	v_cndmask_b32_e64 v14, v14, v0, s0
	v_cmp_ne_u32_e64 s0, 0, v12
	v_lshrrev_b32_e32 v12, 8, v13
	v_lshrrev_b32_e32 v13, 16, v13
	v_cndmask_b32_e64 v17, v17, v4, s2
	v_and_b32_e32 v24, 7, v14
	s_wait_alu 0xf1ff
	v_cndmask_b32_e64 v0, 0, 1, s0
	v_lshrrev_b32_e32 v14, 2, v14
	s_movk_i32 s2, 0xfc17
	s_mov_b32 s3, -1
	v_cmp_lt_i32_e64 s0, 5, v24
	v_and_or_b32 v12, 0xffe, v12, v0
	v_cmp_eq_u32_e64 s1, 3, v24
	v_mul_f64_e32 v[0:1], s[10:11], v[2:3]
	v_cvt_f32_f16_e32 v2, v23
	v_med3_i32 v24, v25, 0, 13
	v_or_b32_e32 v23, 0x1000, v12
	s_or_b32 s0, s1, s0
	s_wait_alu 0xfffe
	s_mul_u64 s[2:3], s[4:5], s[2:3]
	v_add_co_ci_u32_e64 v4, s0, 0, v14, s0
	v_lshrrev_b32_e32 v18, v24, v23
	v_cmp_ne_u32_e64 s0, 0, v8
	v_cvt_f64_f32_e32 v[2:3], v2
	s_wait_alu 0xfffe
	s_lshl_b64 s[4:5], s[2:3], 2
	v_lshlrev_b32_e32 v14, v24, v18
	v_cndmask_b32_e64 v8, 0, 1, s0
	v_cmp_gt_i32_e64 s0, 31, v16
	v_lshrrev_b32_e32 v24, 16, v5
	s_delay_alu instid0(VALU_DEP_3) | instskip(SKIP_1) | instid1(VALU_DEP_3)
	v_lshl_or_b32 v5, v8, 9, 0x7c00
	s_wait_alu 0xf1ff
	v_cndmask_b32_e64 v4, 0x7c00, v4, s0
	v_cmp_ne_u32_e64 s0, v14, v23
	v_add_nc_u32_e32 v14, 0xfffffc10, v21
	v_and_or_b32 v17, 0x8000, v24, v17
	s_wait_alu 0xf1ff
	s_delay_alu instid0(VALU_DEP_3) | instskip(SKIP_2) | instid1(VALU_DEP_1)
	v_cndmask_b32_e64 v8, 0, 1, s0
	v_cmp_eq_u32_e64 s0, 0x40f, v16
	s_wait_alu 0xf1ff
	v_cndmask_b32_e64 v16, v4, v5, s0
	v_mul_f64_e32 v[4:5], s[10:11], v[10:11]
	v_or_b32_e32 v11, v18, v8
	v_add_co_u32 v8, s0, v6, s12
	v_lshrrev_b32_e32 v10, 16, v9
	s_wait_alu 0xf1ff
	v_add_co_ci_u32_e64 v9, s0, s13, v7, s0
	v_lshl_or_b32 v18, v14, 12, v12
	v_cmp_gt_i32_e64 s0, 1, v14
	v_and_or_b32 v0, 0x1ff, v1, v0
	v_and_or_b32 v10, 0x8000, v10, v16
	v_and_b32_e32 v16, 0xffff, v17
	v_bfe_u32 v21, v1, 20, 11
	s_wait_alu 0xf1ff
	v_cndmask_b32_e64 v11, v18, v11, s0
	v_cmp_ne_u32_e64 s0, 0, v0
	v_lshrrev_b32_e32 v18, 8, v1
	v_mul_f64_e32 v[2:3], s[10:11], v[2:3]
	v_lshl_or_b32 v10, v10, 16, v16
	v_and_b32_e32 v17, 7, v11
	s_wait_alu 0xf1ff
	v_cndmask_b32_e64 v0, 0, 1, s0
	v_lshrrev_b32_e32 v11, 2, v11
	v_sub_nc_u32_e32 v16, 0x3f1, v21
	v_lshrrev_b32_e32 v1, 16, v1
	v_cmp_lt_i32_e64 s0, 5, v17
	v_cmp_eq_u32_e64 s1, 3, v17
	v_and_or_b32 v0, 0xffe, v18, v0
	v_med3_i32 v16, v16, 0, 13
	s_delay_alu instid0(VALU_DEP_3) | instskip(NEXT) | instid1(VALU_DEP_2)
	s_or_b32 s0, s1, s0
	v_or_b32_e32 v17, 0x1000, v0
	s_wait_alu 0xfffe
	v_add_co_ci_u32_e64 v11, s0, 0, v11, s0
	v_cmp_ne_u32_e64 s0, 0, v12
	s_delay_alu instid0(VALU_DEP_3) | instskip(SKIP_1) | instid1(VALU_DEP_2)
	v_lshrrev_b32_e32 v18, v16, v17
	s_wait_alu 0xf1ff
	v_cndmask_b32_e64 v12, 0, 1, s0
	v_and_or_b32 v4, 0x1ff, v5, v4
	v_cmp_gt_i32_e64 s0, 31, v14
	v_lshlrev_b32_e32 v16, v16, v18
	v_lshrrev_b32_e32 v23, 8, v5
	v_bfe_u32 v24, v5, 20, 11
	v_lshl_or_b32 v12, v12, 9, 0x7c00
	s_wait_alu 0xf1ff
	v_cndmask_b32_e64 v11, 0x7c00, v11, s0
	v_cmp_ne_u32_e64 s0, 0, v4
	v_lshrrev_b32_e32 v5, 16, v5
	s_wait_alu 0xf1ff
	s_delay_alu instid0(VALU_DEP_2)
	v_cndmask_b32_e64 v4, 0, 1, s0
	v_cmp_ne_u32_e64 s0, v16, v17
	v_add_nc_u32_e32 v17, 0xfffffc10, v21
	v_sub_nc_u32_e32 v21, 0x3f1, v24
	v_and_or_b32 v2, 0x1ff, v3, v2
	v_and_or_b32 v4, 0xffe, v23, v4
	s_wait_alu 0xf1ff
	v_cndmask_b32_e64 v16, 0, 1, s0
	v_cmp_eq_u32_e64 s0, 0x40f, v14
	v_lshl_or_b32 v14, v17, 12, v0
	v_bfe_u32 v23, v3, 20, 11
	s_wait_alu 0xf1ff
	s_delay_alu instid0(VALU_DEP_3)
	v_cndmask_b32_e64 v11, v11, v12, s0
	v_or_b32_e32 v12, v18, v16
	v_or_b32_e32 v16, 0x1000, v4
	v_med3_i32 v18, v21, 0, 13
	v_cmp_gt_i32_e64 s0, 1, v17
	v_lshrrev_b32_e32 v21, 8, v3
	v_and_or_b32 v11, 0x8000, v13, v11
	v_sub_nc_u32_e32 v13, 0x3f1, v23
	s_wait_alu 0xf1ff
	v_cndmask_b32_e64 v12, v14, v12, s0
	v_lshrrev_b32_e32 v14, v18, v16
	v_cmp_ne_u32_e64 s0, 0, v2
	v_med3_i32 v13, v13, 0, 13
	s_delay_alu instid0(VALU_DEP_4) | instskip(NEXT) | instid1(VALU_DEP_4)
	v_and_b32_e32 v25, 7, v12
	v_lshlrev_b32_e32 v18, v18, v14
	s_wait_alu 0xf1ff
	v_cndmask_b32_e64 v2, 0, 1, s0
	v_lshrrev_b32_e32 v12, 2, v12
	v_cmp_lt_i32_e64 s0, 5, v25
	v_cmp_ne_u32_e64 s1, v18, v16
	s_delay_alu instid0(VALU_DEP_4) | instskip(SKIP_2) | instid1(VALU_DEP_3)
	v_and_or_b32 v2, 0xffe, v21, v2
	v_add_nc_u32_e32 v21, 0xfffffc10, v24
	s_wait_alu 0xf1ff
	v_cndmask_b32_e64 v16, 0, 1, s1
	v_cmp_eq_u32_e64 s1, 3, v25
	v_or_b32_e32 v18, 0x1000, v2
	v_lshl_or_b32 v24, v21, 12, v4
	s_delay_alu instid0(VALU_DEP_4) | instskip(NEXT) | instid1(VALU_DEP_4)
	v_or_b32_e32 v14, v14, v16
	s_or_b32 s0, s1, s0
	s_delay_alu instid0(VALU_DEP_3) | instskip(SKIP_3) | instid1(VALU_DEP_3)
	v_lshrrev_b32_e32 v16, v13, v18
	s_wait_alu 0xfffe
	v_add_co_ci_u32_e64 v12, s0, 0, v12, s0
	v_cmp_gt_i32_e64 s0, 1, v21
	v_lshlrev_b32_e32 v13, v13, v16
	s_wait_alu 0xf1ff
	s_delay_alu instid0(VALU_DEP_2) | instskip(SKIP_2) | instid1(VALU_DEP_1)
	v_cndmask_b32_e64 v14, v24, v14, s0
	v_cmp_ne_u32_e64 s0, 0, v0
	s_wait_alu 0xf1ff
	v_cndmask_b32_e64 v0, 0, 1, s0
	v_cmp_ne_u32_e64 s0, v13, v18
	v_add_nc_u32_e32 v18, 0xfffffc10, v23
	v_and_b32_e32 v23, 7, v14
	s_delay_alu instid0(VALU_DEP_4)
	v_lshl_or_b32 v0, v0, 9, 0x7c00
	s_wait_alu 0xf1ff
	v_cndmask_b32_e64 v13, 0, 1, s0
	v_cmp_gt_i32_e64 s0, 31, v17
	v_cmp_gt_i32_e64 s2, 1, v18
	v_cmp_eq_u32_e64 s1, 3, v23
	s_delay_alu instid0(VALU_DEP_4) | instskip(SKIP_4) | instid1(VALU_DEP_3)
	v_or_b32_e32 v13, v16, v13
	v_lshl_or_b32 v16, v18, 12, v2
	s_wait_alu 0xf1ff
	v_cndmask_b32_e64 v12, 0x7c00, v12, s0
	v_cmp_lt_i32_e64 s0, 5, v23
	v_cndmask_b32_e64 v13, v16, v13, s2
	v_cmp_eq_u32_e64 s2, 0x40f, v17
	s_delay_alu instid0(VALU_DEP_3) | instskip(NEXT) | instid1(VALU_DEP_1)
	s_or_b32 s0, s1, s0
	v_cndmask_b32_e64 v0, v12, v0, s2
	v_lshrrev_b32_e32 v12, 2, v14
	v_and_b32_e32 v14, 7, v13
	v_lshrrev_b32_e32 v13, 2, v13
	v_cmp_gt_i32_e64 s2, 31, v21
	v_and_or_b32 v0, 0x8000, v1, v0
	s_wait_alu 0xfffe
	v_add_co_ci_u32_e64 v12, s0, 0, v12, s0
	v_cmp_ne_u32_e64 s0, 0, v4
	v_cmp_eq_u32_e64 s1, 3, v14
	v_and_b32_e32 v1, 0xffff, v11
	s_wait_alu 0xf1ff
	v_cndmask_b32_e64 v12, 0x7c00, v12, s2
	v_lshrrev_b32_e32 v11, 16, v3
	v_cndmask_b32_e64 v4, 0, 1, s0
	v_cmp_lt_i32_e64 s0, 5, v14
	s_delay_alu instid0(VALU_DEP_2) | instskip(NEXT) | instid1(VALU_DEP_2)
	v_lshl_or_b32 v4, v4, 9, 0x7c00
	s_or_b32 s0, s1, s0
	s_wait_alu 0xfffe
	v_add_co_ci_u32_e64 v13, s0, 0, v13, s0
	v_cmp_ne_u32_e64 s0, 0, v2
	s_wait_alu 0xf1ff
	s_delay_alu instid0(VALU_DEP_1) | instskip(SKIP_1) | instid1(VALU_DEP_2)
	v_cndmask_b32_e64 v2, 0, 1, s0
	v_cmp_eq_u32_e64 s0, 0x40f, v21
	v_lshl_or_b32 v2, v2, 9, 0x7c00
	s_wait_alu 0xf1ff
	s_delay_alu instid0(VALU_DEP_2) | instskip(SKIP_1) | instid1(VALU_DEP_2)
	v_cndmask_b32_e64 v4, v12, v4, s0
	v_cmp_gt_i32_e64 s0, 31, v18
	v_and_or_b32 v4, 0x8000, v5, v4
	s_wait_alu 0xf1ff
	s_delay_alu instid0(VALU_DEP_2) | instskip(SKIP_2) | instid1(VALU_DEP_1)
	v_cndmask_b32_e64 v12, 0x7c00, v13, s0
	v_cmp_eq_u32_e64 s0, 0x40f, v18
	s_wait_alu 0xf1ff
	v_cndmask_b32_e64 v5, v12, v2, s0
	v_add_co_u32 v2, s0, v8, s4
	s_wait_alu 0xf1ff
	v_add_co_ci_u32_e64 v3, s0, s5, v9, s0
	v_lshl_or_b32 v12, v0, 16, v1
	v_and_or_b32 v0, 0x8000, v11, v5
	v_and_b32_e32 v1, 0xffff, v4
	v_add_co_u32 v4, s0, v2, s12
	s_wait_alu 0xf1ff
	v_add_co_ci_u32_e64 v5, s0, s13, v3, s0
	s_delay_alu instid0(VALU_DEP_3) | instskip(NEXT) | instid1(VALU_DEP_3)
	v_lshl_or_b32 v11, v0, 16, v1
	v_add_co_u32 v0, s0, v4, s12
	s_wait_alu 0xf1ff
	s_delay_alu instid0(VALU_DEP_3)
	v_add_co_ci_u32_e64 v1, s0, s13, v5, s0
	s_clause 0x3
	global_store_b32 v[6:7], v22, off
	global_store_b32 v[8:9], v15, off
	;; [unrolled: 1-line block ×5, first 2 shown]
	s_and_b32 exec_lo, exec_lo, vcc_lo
	s_cbranch_execz .LBB0_31
; %bb.30:
	s_clause 0x2
	global_load_b32 v2, v[19:20], off offset:1848
	global_load_b32 v4, v[19:20], off offset:4312
	;; [unrolled: 1-line block ×3, first 2 shown]
	ds_load_b32 v3, v38 offset:1848
	ds_load_b32 v5, v38 offset:4312
	ds_load_b32 v6, v38 offset:6776
	v_add_co_u32 v0, vcc_lo, v0, s4
	s_wait_alu 0xfffd
	v_add_co_ci_u32_e32 v1, vcc_lo, s5, v1, vcc_lo
	s_wait_dscnt 0x2
	v_lshrrev_b32_e32 v7, 16, v3
	s_wait_dscnt 0x1
	v_lshrrev_b32_e32 v11, 16, v5
	;; [unrolled: 2-line block ×3, first 2 shown]
	s_wait_loadcnt 0x2
	v_lshrrev_b32_e32 v9, 16, v2
	s_wait_loadcnt 0x1
	v_lshrrev_b32_e32 v12, 16, v4
	s_delay_alu instid0(VALU_DEP_2) | instskip(SKIP_1) | instid1(VALU_DEP_3)
	v_mul_f16_e32 v10, v7, v9
	v_mul_f16_e32 v9, v3, v9
	;; [unrolled: 1-line block ×3, first 2 shown]
	s_delay_alu instid0(VALU_DEP_3) | instskip(NEXT) | instid1(VALU_DEP_3)
	v_fmac_f16_e32 v10, v3, v2
	v_fma_f16 v2, v2, v7, -v9
	s_wait_loadcnt 0x0
	v_lshrrev_b32_e32 v7, 16, v8
	v_mul_f16_e32 v9, v5, v12
	v_fmac_f16_e32 v14, v5, v4
	v_cvt_f32_f16_e32 v3, v10
	v_cvt_f32_f16_e32 v5, v2
	v_mul_f16_e32 v10, v13, v7
	v_fma_f16 v9, v4, v11, -v9
	v_cvt_f32_f16_e32 v11, v14
	v_cvt_f64_f32_e32 v[2:3], v3
	v_cvt_f64_f32_e32 v[4:5], v5
	v_mul_f16_e32 v12, v6, v7
	v_fmac_f16_e32 v10, v6, v8
	v_cvt_f32_f16_e32 v9, v9
	v_cvt_f64_f32_e32 v[6:7], v11
	v_add_co_u32 v14, vcc_lo, v0, s12
	v_fma_f16 v11, v8, v13, -v12
	v_cvt_f32_f16_e32 v10, v10
	v_cvt_f64_f32_e32 v[8:9], v9
	s_wait_alu 0xfffd
	v_add_co_ci_u32_e32 v15, vcc_lo, s13, v1, vcc_lo
	v_cvt_f32_f16_e32 v12, v11
	v_cvt_f64_f32_e32 v[10:11], v10
	s_delay_alu instid0(VALU_DEP_2)
	v_cvt_f64_f32_e32 v[12:13], v12
	v_mul_f64_e32 v[2:3], s[10:11], v[2:3]
	v_mul_f64_e32 v[4:5], s[10:11], v[4:5]
	;; [unrolled: 1-line block ×6, first 2 shown]
	v_and_or_b32 v2, 0x1ff, v3, v2
	v_and_or_b32 v4, 0x1ff, v5, v4
	v_lshrrev_b32_e32 v16, 8, v3
	v_bfe_u32 v17, v3, 20, 11
	v_lshrrev_b32_e32 v18, 8, v5
	v_cmp_ne_u32_e32 vcc_lo, 0, v2
	v_and_or_b32 v6, 0x1ff, v7, v6
	v_bfe_u32 v19, v5, 20, 11
	v_lshrrev_b32_e32 v20, 8, v7
	v_bfe_u32 v21, v7, 20, 11
	s_wait_alu 0xfffd
	v_cndmask_b32_e64 v2, 0, 1, vcc_lo
	v_cmp_ne_u32_e32 vcc_lo, 0, v4
	v_and_or_b32 v8, 0x1ff, v9, v8
	v_bfe_u32 v23, v9, 20, 11
	v_and_or_b32 v10, 0x1ff, v11, v10
	v_and_or_b32 v2, 0xffe, v16, v2
	s_wait_alu 0xfffd
	v_cndmask_b32_e64 v4, 0, 1, vcc_lo
	v_cmp_ne_u32_e32 vcc_lo, 0, v6
	v_and_or_b32 v12, 0x1ff, v13, v12
	v_sub_nc_u32_e32 v28, 0x3f1, v17
	v_add_nc_u32_e32 v17, 0xfffffc10, v17
	v_sub_nc_u32_e32 v29, 0x3f1, v19
	s_wait_alu 0xfffd
	v_cndmask_b32_e64 v6, 0, 1, vcc_lo
	v_cmp_ne_u32_e32 vcc_lo, 0, v8
	v_and_or_b32 v4, 0xffe, v18, v4
	v_lshrrev_b32_e32 v22, 8, v9
	v_bfe_u32 v25, v11, 20, 11
	v_bfe_u32 v27, v13, 20, 11
	s_wait_alu 0xfffd
	v_cndmask_b32_e64 v8, 0, 1, vcc_lo
	v_cmp_ne_u32_e32 vcc_lo, 0, v10
	v_add_nc_u32_e32 v19, 0xfffffc10, v19
	v_sub_nc_u32_e32 v30, 0x3f1, v21
	v_sub_nc_u32_e32 v31, 0x3f1, v23
	v_med3_i32 v16, v28, 0, 13
	s_wait_alu 0xfffd
	v_cndmask_b32_e64 v10, 0, 1, vcc_lo
	v_cmp_ne_u32_e32 vcc_lo, 0, v12
	v_med3_i32 v18, v29, 0, 13
	v_and_or_b32 v6, 0xffe, v20, v6
	v_or_b32_e32 v28, 0x1000, v2
	v_lshl_or_b32 v29, v17, 12, v2
	s_wait_alu 0xfffd
	v_cndmask_b32_e64 v12, 0, 1, vcc_lo
	v_cmp_ne_u32_e32 vcc_lo, 0, v2
	v_lshrrev_b32_e32 v24, 8, v11
	v_lshrrev_b32_e32 v26, 8, v13
	v_add_nc_u32_e32 v21, 0xfffffc10, v21
	v_sub_nc_u32_e32 v32, 0x3f1, v25
	s_wait_alu 0xfffd
	v_cndmask_b32_e64 v2, 0, 1, vcc_lo
	v_cmp_ne_u32_e32 vcc_lo, 0, v4
	v_sub_nc_u32_e32 v33, 0x3f1, v27
	v_med3_i32 v20, v30, 0, 13
	v_and_or_b32 v8, 0xffe, v22, v8
	v_med3_i32 v22, v31, 0, 13
	v_or_b32_e32 v30, 0x1000, v4
	v_lshl_or_b32 v31, v19, 12, v4
	s_wait_alu 0xfffd
	v_cndmask_b32_e64 v4, 0, 1, vcc_lo
	v_cmp_ne_u32_e32 vcc_lo, 0, v6
	v_add_nc_u32_e32 v23, 0xfffffc10, v23
	v_and_or_b32 v10, 0xffe, v24, v10
	v_med3_i32 v24, v32, 0, 13
	v_and_or_b32 v12, 0xffe, v26, v12
	v_med3_i32 v26, v33, 0, 13
	v_or_b32_e32 v32, 0x1000, v6
	v_lshl_or_b32 v33, v21, 12, v6
	s_wait_alu 0xfffd
	v_cndmask_b32_e64 v6, 0, 1, vcc_lo
	v_cmp_ne_u32_e32 vcc_lo, 0, v8
	v_add_nc_u32_e32 v25, 0xfffffc10, v25
	v_or_b32_e32 v34, 0x1000, v8
	v_lshl_or_b32 v35, v23, 12, v8
	v_lshrrev_b32_e32 v40, v16, v28
	s_wait_alu 0xfffd
	v_cndmask_b32_e64 v8, 0, 1, vcc_lo
	v_cmp_ne_u32_e32 vcc_lo, 0, v10
	v_add_nc_u32_e32 v27, 0xfffffc10, v27
	v_or_b32_e32 v36, 0x1000, v10
	v_lshl_or_b32 v37, v25, 12, v10
	v_lshrrev_b32_e32 v41, v18, v30
	s_wait_alu 0xfffd
	v_cndmask_b32_e64 v10, 0, 1, vcc_lo
	v_cmp_ne_u32_e32 vcc_lo, 0, v12
	v_lshlrev_b32_e32 v16, v16, v40
	v_or_b32_e32 v38, 0x1000, v12
	v_lshl_or_b32 v39, v27, 12, v12
	v_lshrrev_b32_e32 v42, v20, v32
	s_wait_alu 0xfffd
	v_cndmask_b32_e64 v12, 0, 1, vcc_lo
	v_lshlrev_b32_e32 v18, v18, v41
	v_cmp_ne_u32_e32 vcc_lo, v16, v28
	v_lshrrev_b32_e32 v43, v22, v34
	v_lshlrev_b32_e32 v20, v20, v42
	v_lshrrev_b32_e32 v44, v24, v36
	v_lshrrev_b32_e32 v45, v26, v38
	s_wait_alu 0xfffd
	v_cndmask_b32_e64 v16, 0, 1, vcc_lo
	v_cmp_ne_u32_e32 vcc_lo, v18, v30
	v_lshlrev_b32_e32 v22, v22, v43
	v_lshlrev_b32_e32 v24, v24, v44
	;; [unrolled: 1-line block ×3, first 2 shown]
	v_or_b32_e32 v16, v40, v16
	s_wait_alu 0xfffd
	v_cndmask_b32_e64 v18, 0, 1, vcc_lo
	v_cmp_ne_u32_e32 vcc_lo, v20, v32
	v_lshl_or_b32 v2, v2, 9, 0x7c00
	v_lshl_or_b32 v4, v4, 9, 0x7c00
	;; [unrolled: 1-line block ×3, first 2 shown]
	v_or_b32_e32 v18, v41, v18
	s_wait_alu 0xfffd
	v_cndmask_b32_e64 v20, 0, 1, vcc_lo
	v_cmp_ne_u32_e32 vcc_lo, v22, v34
	v_lshl_or_b32 v8, v8, 9, 0x7c00
	v_lshl_or_b32 v10, v10, 9, 0x7c00
	v_lshrrev_b32_e32 v3, 16, v3
	v_or_b32_e32 v20, v42, v20
	s_wait_alu 0xfffd
	v_cndmask_b32_e64 v22, 0, 1, vcc_lo
	v_cmp_ne_u32_e32 vcc_lo, v24, v36
	v_lshrrev_b32_e32 v7, 16, v7
	v_lshrrev_b32_e32 v5, 16, v5
	;; [unrolled: 1-line block ×3, first 2 shown]
	v_or_b32_e32 v22, v43, v22
	s_wait_alu 0xfffd
	v_cndmask_b32_e64 v24, 0, 1, vcc_lo
	v_cmp_ne_u32_e32 vcc_lo, v26, v38
	v_lshl_or_b32 v12, v12, 9, 0x7c00
	v_lshrrev_b32_e32 v9, 16, v9
	v_lshrrev_b32_e32 v13, 16, v13
	v_or_b32_e32 v24, v44, v24
	s_wait_alu 0xfffd
	v_cndmask_b32_e64 v26, 0, 1, vcc_lo
	v_cmp_gt_i32_e32 vcc_lo, 1, v17
	s_delay_alu instid0(VALU_DEP_2) | instskip(SKIP_3) | instid1(VALU_DEP_2)
	v_or_b32_e32 v26, v45, v26
	s_wait_alu 0xfffd
	v_cndmask_b32_e32 v16, v29, v16, vcc_lo
	v_cmp_gt_i32_e32 vcc_lo, 1, v19
	v_and_b32_e32 v28, 7, v16
	s_wait_alu 0xfffd
	v_cndmask_b32_e32 v18, v31, v18, vcc_lo
	v_cmp_gt_i32_e32 vcc_lo, 1, v21
	v_lshrrev_b32_e32 v16, 2, v16
	v_cmp_eq_u32_e64 s0, 3, v28
	s_wait_alu 0xfffd
	v_cndmask_b32_e32 v20, v33, v20, vcc_lo
	v_cmp_gt_i32_e32 vcc_lo, 1, v23
	s_delay_alu instid0(VALU_DEP_2)
	v_and_b32_e32 v30, 7, v20
	s_wait_alu 0xfffd
	v_cndmask_b32_e32 v22, v35, v22, vcc_lo
	v_cmp_gt_i32_e32 vcc_lo, 1, v25
	v_lshrrev_b32_e32 v20, 2, v20
	v_cmp_lt_i32_e64 s3, 5, v30
	v_cmp_eq_u32_e64 s4, 3, v30
	s_wait_alu 0xfffd
	v_cndmask_b32_e32 v24, v37, v24, vcc_lo
	v_cmp_gt_i32_e32 vcc_lo, 1, v27
	s_delay_alu instid0(VALU_DEP_2)
	v_and_b32_e32 v32, 7, v24
	s_wait_alu 0xfffd
	v_cndmask_b32_e32 v26, v39, v26, vcc_lo
	v_cmp_lt_i32_e32 vcc_lo, 5, v28
	v_lshrrev_b32_e32 v24, 2, v24
	v_cmp_lt_i32_e64 s7, 5, v32
	v_cmp_eq_u32_e64 s8, 3, v32
	s_or_b32 vcc_lo, s0, vcc_lo
	s_wait_alu 0xfffe
	v_add_co_ci_u32_e32 v16, vcc_lo, 0, v16, vcc_lo
	v_and_b32_e32 v29, 7, v18
	v_lshrrev_b32_e32 v18, 2, v18
	s_delay_alu instid0(VALU_DEP_2) | instskip(SKIP_1) | instid1(VALU_DEP_1)
	v_cmp_lt_i32_e64 s1, 5, v29
	v_cmp_eq_u32_e64 s2, 3, v29
	s_or_b32 vcc_lo, s2, s1
	s_wait_alu 0xfffe
	v_add_co_ci_u32_e32 v18, vcc_lo, 0, v18, vcc_lo
	s_or_b32 vcc_lo, s4, s3
	s_wait_alu 0xfffe
	v_add_co_ci_u32_e32 v20, vcc_lo, 0, v20, vcc_lo
	v_and_b32_e32 v31, 7, v22
	v_lshrrev_b32_e32 v22, 2, v22
	s_delay_alu instid0(VALU_DEP_2) | instskip(SKIP_1) | instid1(VALU_DEP_1)
	v_cmp_lt_i32_e64 s5, 5, v31
	v_cmp_eq_u32_e64 s6, 3, v31
	s_or_b32 vcc_lo, s6, s5
	s_wait_alu 0xfffe
	v_add_co_ci_u32_e32 v22, vcc_lo, 0, v22, vcc_lo
	s_or_b32 vcc_lo, s8, s7
	s_wait_alu 0xfffe
	v_add_co_ci_u32_e32 v24, vcc_lo, 0, v24, vcc_lo
	v_and_b32_e32 v33, 7, v26
	v_lshrrev_b32_e32 v26, 2, v26
	s_delay_alu instid0(VALU_DEP_2) | instskip(SKIP_1) | instid1(VALU_DEP_1)
	v_cmp_lt_i32_e64 s9, 5, v33
	v_cmp_eq_u32_e64 s10, 3, v33
	s_or_b32 vcc_lo, s10, s9
	s_wait_alu 0xfffe
	v_add_co_ci_u32_e32 v26, vcc_lo, 0, v26, vcc_lo
	v_cmp_gt_i32_e32 vcc_lo, 31, v17
	s_wait_alu 0xfffd
	v_cndmask_b32_e32 v16, 0x7c00, v16, vcc_lo
	v_cmp_gt_i32_e32 vcc_lo, 31, v19
	s_wait_alu 0xfffd
	v_cndmask_b32_e32 v18, 0x7c00, v18, vcc_lo
	;; [unrolled: 3-line block ×6, first 2 shown]
	v_cmp_eq_u32_e32 vcc_lo, 0x40f, v17
	s_wait_alu 0xfffd
	v_cndmask_b32_e32 v2, v16, v2, vcc_lo
	v_cmp_eq_u32_e32 vcc_lo, 0x40f, v19
	s_delay_alu instid0(VALU_DEP_2) | instskip(SKIP_3) | instid1(VALU_DEP_2)
	v_and_or_b32 v2, 0x8000, v3, v2
	s_wait_alu 0xfffd
	v_cndmask_b32_e32 v4, v18, v4, vcc_lo
	v_cmp_eq_u32_e32 vcc_lo, 0x40f, v21
	v_and_or_b32 v4, 0x8000, v5, v4
	s_wait_alu 0xfffd
	v_cndmask_b32_e32 v6, v20, v6, vcc_lo
	v_cmp_eq_u32_e32 vcc_lo, 0x40f, v23
	s_delay_alu instid0(VALU_DEP_2) | instskip(SKIP_3) | instid1(VALU_DEP_2)
	v_and_or_b32 v3, 0x8000, v7, v6
	s_wait_alu 0xfffd
	v_cndmask_b32_e32 v8, v22, v8, vcc_lo
	v_cmp_eq_u32_e32 vcc_lo, 0x40f, v25
	v_and_or_b32 v6, 0x8000, v9, v8
	s_wait_alu 0xfffd
	v_cndmask_b32_e32 v10, v24, v10, vcc_lo
	v_cmp_eq_u32_e32 vcc_lo, 0x40f, v27
	v_and_b32_e32 v8, 0xffff, v2
	v_and_b32_e32 v9, 0xffff, v3
	s_delay_alu instid0(VALU_DEP_4)
	v_and_or_b32 v5, 0x8000, v11, v10
	s_wait_alu 0xfffd
	v_cndmask_b32_e32 v12, v26, v12, vcc_lo
	v_add_co_u32 v2, vcc_lo, v14, s12
	v_lshl_or_b32 v4, v4, 16, v8
	v_and_b32_e32 v5, 0xffff, v5
	s_delay_alu instid0(VALU_DEP_4) | instskip(SKIP_3) | instid1(VALU_DEP_3)
	v_and_or_b32 v7, 0x8000, v13, v12
	v_lshl_or_b32 v6, v6, 16, v9
	s_wait_alu 0xfffd
	v_add_co_ci_u32_e32 v3, vcc_lo, s13, v15, vcc_lo
	v_lshl_or_b32 v5, v7, 16, v5
	global_store_b32 v[0:1], v4, off
	global_store_b32 v[14:15], v6, off
	;; [unrolled: 1-line block ×3, first 2 shown]
.LBB0_31:
	s_nop 0
	s_sendmsg sendmsg(MSG_DEALLOC_VGPRS)
	s_endpgm
	.section	.rodata,"a",@progbits
	.p2align	6, 0x0
	.amdhsa_kernel bluestein_single_back_len1848_dim1_half_op_CI_CI
		.amdhsa_group_segment_fixed_size 7392
		.amdhsa_private_segment_fixed_size 0
		.amdhsa_kernarg_size 104
		.amdhsa_user_sgpr_count 2
		.amdhsa_user_sgpr_dispatch_ptr 0
		.amdhsa_user_sgpr_queue_ptr 0
		.amdhsa_user_sgpr_kernarg_segment_ptr 1
		.amdhsa_user_sgpr_dispatch_id 0
		.amdhsa_user_sgpr_private_segment_size 0
		.amdhsa_wavefront_size32 1
		.amdhsa_uses_dynamic_stack 0
		.amdhsa_enable_private_segment 0
		.amdhsa_system_sgpr_workgroup_id_x 1
		.amdhsa_system_sgpr_workgroup_id_y 0
		.amdhsa_system_sgpr_workgroup_id_z 0
		.amdhsa_system_sgpr_workgroup_info 0
		.amdhsa_system_vgpr_workitem_id 0
		.amdhsa_next_free_vgpr 199
		.amdhsa_next_free_sgpr 18
		.amdhsa_reserve_vcc 1
		.amdhsa_float_round_mode_32 0
		.amdhsa_float_round_mode_16_64 0
		.amdhsa_float_denorm_mode_32 3
		.amdhsa_float_denorm_mode_16_64 3
		.amdhsa_fp16_overflow 0
		.amdhsa_workgroup_processor_mode 1
		.amdhsa_memory_ordered 1
		.amdhsa_forward_progress 0
		.amdhsa_round_robin_scheduling 0
		.amdhsa_exception_fp_ieee_invalid_op 0
		.amdhsa_exception_fp_denorm_src 0
		.amdhsa_exception_fp_ieee_div_zero 0
		.amdhsa_exception_fp_ieee_overflow 0
		.amdhsa_exception_fp_ieee_underflow 0
		.amdhsa_exception_fp_ieee_inexact 0
		.amdhsa_exception_int_div_zero 0
	.end_amdhsa_kernel
	.text
.Lfunc_end0:
	.size	bluestein_single_back_len1848_dim1_half_op_CI_CI, .Lfunc_end0-bluestein_single_back_len1848_dim1_half_op_CI_CI
                                        ; -- End function
	.section	.AMDGPU.csdata,"",@progbits
; Kernel info:
; codeLenInByte = 21964
; NumSgprs: 20
; NumVgprs: 199
; ScratchSize: 0
; MemoryBound: 0
; FloatMode: 240
; IeeeMode: 1
; LDSByteSize: 7392 bytes/workgroup (compile time only)
; SGPRBlocks: 2
; VGPRBlocks: 24
; NumSGPRsForWavesPerEU: 20
; NumVGPRsForWavesPerEU: 199
; Occupancy: 7
; WaveLimiterHint : 1
; COMPUTE_PGM_RSRC2:SCRATCH_EN: 0
; COMPUTE_PGM_RSRC2:USER_SGPR: 2
; COMPUTE_PGM_RSRC2:TRAP_HANDLER: 0
; COMPUTE_PGM_RSRC2:TGID_X_EN: 1
; COMPUTE_PGM_RSRC2:TGID_Y_EN: 0
; COMPUTE_PGM_RSRC2:TGID_Z_EN: 0
; COMPUTE_PGM_RSRC2:TIDIG_COMP_CNT: 0
	.text
	.p2alignl 7, 3214868480
	.fill 96, 4, 3214868480
	.type	__hip_cuid_4edb38feeb900e57,@object ; @__hip_cuid_4edb38feeb900e57
	.section	.bss,"aw",@nobits
	.globl	__hip_cuid_4edb38feeb900e57
__hip_cuid_4edb38feeb900e57:
	.byte	0                               ; 0x0
	.size	__hip_cuid_4edb38feeb900e57, 1

	.ident	"AMD clang version 19.0.0git (https://github.com/RadeonOpenCompute/llvm-project roc-6.4.0 25133 c7fe45cf4b819c5991fe208aaa96edf142730f1d)"
	.section	".note.GNU-stack","",@progbits
	.addrsig
	.addrsig_sym __hip_cuid_4edb38feeb900e57
	.amdgpu_metadata
---
amdhsa.kernels:
  - .args:
      - .actual_access:  read_only
        .address_space:  global
        .offset:         0
        .size:           8
        .value_kind:     global_buffer
      - .actual_access:  read_only
        .address_space:  global
        .offset:         8
        .size:           8
        .value_kind:     global_buffer
      - .actual_access:  read_only
        .address_space:  global
        .offset:         16
        .size:           8
        .value_kind:     global_buffer
      - .actual_access:  read_only
        .address_space:  global
        .offset:         24
        .size:           8
        .value_kind:     global_buffer
      - .actual_access:  read_only
        .address_space:  global
        .offset:         32
        .size:           8
        .value_kind:     global_buffer
      - .offset:         40
        .size:           8
        .value_kind:     by_value
      - .address_space:  global
        .offset:         48
        .size:           8
        .value_kind:     global_buffer
      - .address_space:  global
        .offset:         56
        .size:           8
        .value_kind:     global_buffer
      - .address_space:  global
        .offset:         64
        .size:           8
        .value_kind:     global_buffer
      - .address_space:  global
        .offset:         72
        .size:           8
        .value_kind:     global_buffer
      - .offset:         80
        .size:           4
        .value_kind:     by_value
      - .address_space:  global
        .offset:         88
        .size:           8
        .value_kind:     global_buffer
      - .address_space:  global
        .offset:         96
        .size:           8
        .value_kind:     global_buffer
    .group_segment_fixed_size: 7392
    .kernarg_segment_align: 8
    .kernarg_segment_size: 104
    .language:       OpenCL C
    .language_version:
      - 2
      - 0
    .max_flat_workgroup_size: 231
    .name:           bluestein_single_back_len1848_dim1_half_op_CI_CI
    .private_segment_fixed_size: 0
    .sgpr_count:     20
    .sgpr_spill_count: 0
    .symbol:         bluestein_single_back_len1848_dim1_half_op_CI_CI.kd
    .uniform_work_group_size: 1
    .uses_dynamic_stack: false
    .vgpr_count:     199
    .vgpr_spill_count: 0
    .wavefront_size: 32
    .workgroup_processor_mode: 1
amdhsa.target:   amdgcn-amd-amdhsa--gfx1201
amdhsa.version:
  - 1
  - 2
...

	.end_amdgpu_metadata
